;; amdgpu-corpus repo=ROCm/rocFFT kind=compiled arch=gfx1201 opt=O3
	.text
	.amdgcn_target "amdgcn-amd-amdhsa--gfx1201"
	.amdhsa_code_object_version 6
	.protected	fft_rtc_fwd_len1275_factors_17_3_5_5_wgs_255_tpt_85_halfLds_dp_op_CI_CI_sbrr_dirReg ; -- Begin function fft_rtc_fwd_len1275_factors_17_3_5_5_wgs_255_tpt_85_halfLds_dp_op_CI_CI_sbrr_dirReg
	.globl	fft_rtc_fwd_len1275_factors_17_3_5_5_wgs_255_tpt_85_halfLds_dp_op_CI_CI_sbrr_dirReg
	.p2align	8
	.type	fft_rtc_fwd_len1275_factors_17_3_5_5_wgs_255_tpt_85_halfLds_dp_op_CI_CI_sbrr_dirReg,@function
fft_rtc_fwd_len1275_factors_17_3_5_5_wgs_255_tpt_85_halfLds_dp_op_CI_CI_sbrr_dirReg: ; @fft_rtc_fwd_len1275_factors_17_3_5_5_wgs_255_tpt_85_halfLds_dp_op_CI_CI_sbrr_dirReg
; %bb.0:
	s_clause 0x1
	s_load_b128 s[12:15], s[0:1], 0x18
	s_load_b128 s[8:11], s[0:1], 0x0
	v_mul_u32_u24_e32 v1, 0x304, v0
	v_mov_b32_e32 v4, 0
	s_load_b128 s[4:7], s[0:1], 0x58
	s_wait_kmcnt 0x0
	s_load_b64 s[18:19], s[12:13], 0x0
	s_load_b64 s[16:17], s[14:15], 0x0
	v_lshrrev_b32_e32 v2, 16, v1
	v_mov_b32_e32 v1, 0
	v_cmp_lt_u64_e64 s2, s[10:11], 2
	s_delay_alu instid0(VALU_DEP_3) | instskip(NEXT) | instid1(VALU_DEP_3)
	v_mad_co_u64_u32 v[68:69], null, ttmp9, 3, v[2:3]
	v_mov_b32_e32 v69, v1
	v_mov_b32_e32 v5, 0
	s_delay_alu instid0(VALU_DEP_4) | instskip(NEXT) | instid1(VALU_DEP_2)
	s_and_b32 vcc_lo, exec_lo, s2
	v_dual_mov_b32 v99, v69 :: v_dual_mov_b32 v98, v68
	s_delay_alu instid0(VALU_DEP_2)
	v_dual_mov_b32 v97, v5 :: v_dual_mov_b32 v96, v4
	s_cbranch_vccnz .LBB0_8
; %bb.1:
	s_load_b64 s[2:3], s[0:1], 0x10
	v_mov_b32_e32 v4, 0
	v_dual_mov_b32 v5, 0 :: v_dual_mov_b32 v6, v68
	v_mov_b32_e32 v7, v69
	s_add_nc_u64 s[20:21], s[14:15], 8
	s_add_nc_u64 s[22:23], s[12:13], 8
	s_delay_alu instid0(VALU_DEP_2)
	v_dual_mov_b32 v97, v5 :: v_dual_mov_b32 v96, v4
	s_mov_b64 s[24:25], 1
	s_wait_kmcnt 0x0
	s_add_nc_u64 s[26:27], s[2:3], 8
	s_mov_b32 s3, 0
.LBB0_2:                                ; =>This Inner Loop Header: Depth=1
	s_load_b64 s[28:29], s[26:27], 0x0
                                        ; implicit-def: $vgpr98_vgpr99
	s_mov_b32 s2, exec_lo
	s_wait_kmcnt 0x0
	v_or_b32_e32 v2, s29, v7
	s_delay_alu instid0(VALU_DEP_1)
	v_cmpx_ne_u64_e32 0, v[1:2]
	s_wait_alu 0xfffe
	s_xor_b32 s30, exec_lo, s2
	s_cbranch_execz .LBB0_4
; %bb.3:                                ;   in Loop: Header=BB0_2 Depth=1
	s_cvt_f32_u32 s2, s28
	s_cvt_f32_u32 s31, s29
	s_sub_nc_u64 s[36:37], 0, s[28:29]
	s_wait_alu 0xfffe
	s_delay_alu instid0(SALU_CYCLE_1) | instskip(SKIP_1) | instid1(SALU_CYCLE_2)
	s_fmamk_f32 s2, s31, 0x4f800000, s2
	s_wait_alu 0xfffe
	v_s_rcp_f32 s2, s2
	s_delay_alu instid0(TRANS32_DEP_1) | instskip(SKIP_1) | instid1(SALU_CYCLE_2)
	s_mul_f32 s2, s2, 0x5f7ffffc
	s_wait_alu 0xfffe
	s_mul_f32 s31, s2, 0x2f800000
	s_wait_alu 0xfffe
	s_delay_alu instid0(SALU_CYCLE_2) | instskip(SKIP_1) | instid1(SALU_CYCLE_2)
	s_trunc_f32 s31, s31
	s_wait_alu 0xfffe
	s_fmamk_f32 s2, s31, 0xcf800000, s2
	s_cvt_u32_f32 s35, s31
	s_wait_alu 0xfffe
	s_delay_alu instid0(SALU_CYCLE_1) | instskip(SKIP_1) | instid1(SALU_CYCLE_2)
	s_cvt_u32_f32 s34, s2
	s_wait_alu 0xfffe
	s_mul_u64 s[38:39], s[36:37], s[34:35]
	s_wait_alu 0xfffe
	s_mul_hi_u32 s41, s34, s39
	s_mul_i32 s40, s34, s39
	s_mul_hi_u32 s2, s34, s38
	s_mul_i32 s33, s35, s38
	s_wait_alu 0xfffe
	s_add_nc_u64 s[40:41], s[2:3], s[40:41]
	s_mul_hi_u32 s31, s35, s38
	s_mul_hi_u32 s42, s35, s39
	s_add_co_u32 s2, s40, s33
	s_wait_alu 0xfffe
	s_add_co_ci_u32 s2, s41, s31
	s_mul_i32 s38, s35, s39
	s_add_co_ci_u32 s39, s42, 0
	s_wait_alu 0xfffe
	s_add_nc_u64 s[38:39], s[2:3], s[38:39]
	s_wait_alu 0xfffe
	v_add_co_u32 v2, s2, s34, s38
	s_delay_alu instid0(VALU_DEP_1) | instskip(SKIP_1) | instid1(VALU_DEP_1)
	s_cmp_lg_u32 s2, 0
	s_add_co_ci_u32 s35, s35, s39
	v_readfirstlane_b32 s34, v2
	s_wait_alu 0xfffe
	s_delay_alu instid0(VALU_DEP_1)
	s_mul_u64 s[36:37], s[36:37], s[34:35]
	s_wait_alu 0xfffe
	s_mul_hi_u32 s39, s34, s37
	s_mul_i32 s38, s34, s37
	s_mul_hi_u32 s2, s34, s36
	s_mul_i32 s33, s35, s36
	s_wait_alu 0xfffe
	s_add_nc_u64 s[38:39], s[2:3], s[38:39]
	s_mul_hi_u32 s31, s35, s36
	s_mul_hi_u32 s34, s35, s37
	s_wait_alu 0xfffe
	s_add_co_u32 s2, s38, s33
	s_add_co_ci_u32 s2, s39, s31
	s_mul_i32 s36, s35, s37
	s_add_co_ci_u32 s37, s34, 0
	s_wait_alu 0xfffe
	s_add_nc_u64 s[36:37], s[2:3], s[36:37]
	s_wait_alu 0xfffe
	v_add_co_u32 v8, s2, v2, s36
	s_delay_alu instid0(VALU_DEP_1) | instskip(SKIP_1) | instid1(VALU_DEP_1)
	s_cmp_lg_u32 s2, 0
	s_add_co_ci_u32 s2, s35, s37
	v_mul_hi_u32 v12, v6, v8
	s_wait_alu 0xfffe
	v_mad_co_u64_u32 v[2:3], null, v6, s2, 0
	v_mad_co_u64_u32 v[8:9], null, v7, v8, 0
	;; [unrolled: 1-line block ×3, first 2 shown]
	s_delay_alu instid0(VALU_DEP_3) | instskip(SKIP_1) | instid1(VALU_DEP_4)
	v_add_co_u32 v2, vcc_lo, v12, v2
	s_wait_alu 0xfffd
	v_add_co_ci_u32_e32 v3, vcc_lo, 0, v3, vcc_lo
	s_delay_alu instid0(VALU_DEP_2) | instskip(SKIP_1) | instid1(VALU_DEP_2)
	v_add_co_u32 v2, vcc_lo, v2, v8
	s_wait_alu 0xfffd
	v_add_co_ci_u32_e32 v2, vcc_lo, v3, v9, vcc_lo
	s_wait_alu 0xfffd
	v_add_co_ci_u32_e32 v3, vcc_lo, 0, v11, vcc_lo
	s_delay_alu instid0(VALU_DEP_2) | instskip(SKIP_1) | instid1(VALU_DEP_2)
	v_add_co_u32 v8, vcc_lo, v2, v10
	s_wait_alu 0xfffd
	v_add_co_ci_u32_e32 v9, vcc_lo, 0, v3, vcc_lo
	s_delay_alu instid0(VALU_DEP_2) | instskip(SKIP_1) | instid1(VALU_DEP_3)
	v_mul_lo_u32 v10, s29, v8
	v_mad_co_u64_u32 v[2:3], null, s28, v8, 0
	v_mul_lo_u32 v11, s28, v9
	s_delay_alu instid0(VALU_DEP_2) | instskip(NEXT) | instid1(VALU_DEP_2)
	v_sub_co_u32 v2, vcc_lo, v6, v2
	v_add3_u32 v3, v3, v11, v10
	s_delay_alu instid0(VALU_DEP_1) | instskip(SKIP_1) | instid1(VALU_DEP_1)
	v_sub_nc_u32_e32 v10, v7, v3
	s_wait_alu 0xfffd
	v_subrev_co_ci_u32_e64 v10, s2, s29, v10, vcc_lo
	v_add_co_u32 v11, s2, v8, 2
	s_wait_alu 0xf1ff
	v_add_co_ci_u32_e64 v12, s2, 0, v9, s2
	v_sub_co_u32 v13, s2, v2, s28
	v_sub_co_ci_u32_e32 v3, vcc_lo, v7, v3, vcc_lo
	s_wait_alu 0xf1ff
	v_subrev_co_ci_u32_e64 v10, s2, 0, v10, s2
	s_delay_alu instid0(VALU_DEP_3) | instskip(NEXT) | instid1(VALU_DEP_3)
	v_cmp_le_u32_e32 vcc_lo, s28, v13
	v_cmp_eq_u32_e64 s2, s29, v3
	s_wait_alu 0xfffd
	v_cndmask_b32_e64 v13, 0, -1, vcc_lo
	v_cmp_le_u32_e32 vcc_lo, s29, v10
	s_wait_alu 0xfffd
	v_cndmask_b32_e64 v14, 0, -1, vcc_lo
	v_cmp_le_u32_e32 vcc_lo, s28, v2
	;; [unrolled: 3-line block ×3, first 2 shown]
	s_wait_alu 0xfffd
	v_cndmask_b32_e64 v15, 0, -1, vcc_lo
	v_cmp_eq_u32_e32 vcc_lo, s29, v10
	s_wait_alu 0xf1ff
	s_delay_alu instid0(VALU_DEP_2)
	v_cndmask_b32_e64 v2, v15, v2, s2
	s_wait_alu 0xfffd
	v_cndmask_b32_e32 v10, v14, v13, vcc_lo
	v_add_co_u32 v13, vcc_lo, v8, 1
	s_wait_alu 0xfffd
	v_add_co_ci_u32_e32 v14, vcc_lo, 0, v9, vcc_lo
	s_delay_alu instid0(VALU_DEP_3) | instskip(SKIP_1) | instid1(VALU_DEP_2)
	v_cmp_ne_u32_e32 vcc_lo, 0, v10
	s_wait_alu 0xfffd
	v_dual_cndmask_b32 v3, v14, v12 :: v_dual_cndmask_b32 v10, v13, v11
	v_cmp_ne_u32_e32 vcc_lo, 0, v2
	s_wait_alu 0xfffd
	s_delay_alu instid0(VALU_DEP_2)
	v_dual_cndmask_b32 v99, v9, v3 :: v_dual_cndmask_b32 v98, v8, v10
.LBB0_4:                                ;   in Loop: Header=BB0_2 Depth=1
	s_wait_alu 0xfffe
	s_and_not1_saveexec_b32 s2, s30
	s_cbranch_execz .LBB0_6
; %bb.5:                                ;   in Loop: Header=BB0_2 Depth=1
	v_cvt_f32_u32_e32 v2, s28
	s_sub_co_i32 s30, 0, s28
	v_mov_b32_e32 v99, v1
	s_delay_alu instid0(VALU_DEP_2) | instskip(NEXT) | instid1(TRANS32_DEP_1)
	v_rcp_iflag_f32_e32 v2, v2
	v_mul_f32_e32 v2, 0x4f7ffffe, v2
	s_delay_alu instid0(VALU_DEP_1) | instskip(SKIP_1) | instid1(VALU_DEP_1)
	v_cvt_u32_f32_e32 v2, v2
	s_wait_alu 0xfffe
	v_mul_lo_u32 v3, s30, v2
	s_delay_alu instid0(VALU_DEP_1) | instskip(NEXT) | instid1(VALU_DEP_1)
	v_mul_hi_u32 v3, v2, v3
	v_add_nc_u32_e32 v2, v2, v3
	s_delay_alu instid0(VALU_DEP_1) | instskip(NEXT) | instid1(VALU_DEP_1)
	v_mul_hi_u32 v2, v6, v2
	v_mul_lo_u32 v3, v2, s28
	v_add_nc_u32_e32 v8, 1, v2
	s_delay_alu instid0(VALU_DEP_2) | instskip(NEXT) | instid1(VALU_DEP_1)
	v_sub_nc_u32_e32 v3, v6, v3
	v_subrev_nc_u32_e32 v9, s28, v3
	v_cmp_le_u32_e32 vcc_lo, s28, v3
	s_wait_alu 0xfffd
	s_delay_alu instid0(VALU_DEP_2) | instskip(NEXT) | instid1(VALU_DEP_1)
	v_dual_cndmask_b32 v3, v3, v9 :: v_dual_cndmask_b32 v2, v2, v8
	v_cmp_le_u32_e32 vcc_lo, s28, v3
	s_delay_alu instid0(VALU_DEP_2) | instskip(SKIP_1) | instid1(VALU_DEP_1)
	v_add_nc_u32_e32 v8, 1, v2
	s_wait_alu 0xfffd
	v_cndmask_b32_e32 v98, v2, v8, vcc_lo
.LBB0_6:                                ;   in Loop: Header=BB0_2 Depth=1
	s_wait_alu 0xfffe
	s_or_b32 exec_lo, exec_lo, s2
	v_mul_lo_u32 v8, v99, s28
	s_delay_alu instid0(VALU_DEP_2)
	v_mul_lo_u32 v9, v98, s29
	s_load_b64 s[30:31], s[22:23], 0x0
	v_mad_co_u64_u32 v[2:3], null, v98, s28, 0
	s_load_b64 s[28:29], s[20:21], 0x0
	s_add_nc_u64 s[24:25], s[24:25], 1
	s_add_nc_u64 s[20:21], s[20:21], 8
	s_wait_alu 0xfffe
	v_cmp_ge_u64_e64 s2, s[24:25], s[10:11]
	s_add_nc_u64 s[22:23], s[22:23], 8
	s_add_nc_u64 s[26:27], s[26:27], 8
	v_add3_u32 v3, v3, v9, v8
	v_sub_co_u32 v2, vcc_lo, v6, v2
	s_wait_alu 0xfffd
	s_delay_alu instid0(VALU_DEP_2) | instskip(SKIP_2) | instid1(VALU_DEP_1)
	v_sub_co_ci_u32_e32 v3, vcc_lo, v7, v3, vcc_lo
	s_and_b32 vcc_lo, exec_lo, s2
	s_wait_kmcnt 0x0
	v_mul_lo_u32 v6, s30, v3
	v_mul_lo_u32 v7, s31, v2
	v_mad_co_u64_u32 v[4:5], null, s30, v2, v[4:5]
	v_mul_lo_u32 v3, s28, v3
	v_mul_lo_u32 v8, s29, v2
	v_mad_co_u64_u32 v[96:97], null, s28, v2, v[96:97]
	s_delay_alu instid0(VALU_DEP_4) | instskip(NEXT) | instid1(VALU_DEP_2)
	v_add3_u32 v5, v7, v5, v6
	v_add3_u32 v97, v8, v97, v3
	s_wait_alu 0xfffe
	s_cbranch_vccnz .LBB0_8
; %bb.7:                                ;   in Loop: Header=BB0_2 Depth=1
	v_dual_mov_b32 v6, v98 :: v_dual_mov_b32 v7, v99
	s_branch .LBB0_2
.LBB0_8:
	s_load_b64 s[0:1], s[0:1], 0x28
	v_mul_hi_u32 v1, 0x3030304, v0
	s_lshl_b64 s[2:3], s[10:11], 3
                                        ; implicit-def: $vgpr6_vgpr7
                                        ; implicit-def: $vgpr10_vgpr11
                                        ; implicit-def: $vgpr14_vgpr15
                                        ; implicit-def: $vgpr18_vgpr19
                                        ; implicit-def: $vgpr26_vgpr27
                                        ; implicit-def: $vgpr30_vgpr31
                                        ; implicit-def: $vgpr42_vgpr43
                                        ; implicit-def: $vgpr22_vgpr23
                                        ; implicit-def: $vgpr34_vgpr35
                                        ; implicit-def: $vgpr38_vgpr39
                                        ; implicit-def: $vgpr50_vgpr51
                                        ; implicit-def: $vgpr46_vgpr47
                                        ; implicit-def: $vgpr54_vgpr55
                                        ; implicit-def: $vgpr58_vgpr59
                                        ; implicit-def: $vgpr62_vgpr63
                                        ; implicit-def: $vgpr66_vgpr67
                                        ; implicit-def: $vgpr2_vgpr3
	s_delay_alu instid0(VALU_DEP_1) | instskip(NEXT) | instid1(VALU_DEP_1)
	v_mul_u32_u24_e32 v1, 0x55, v1
	v_sub_nc_u32_e32 v100, v0, v1
	s_wait_kmcnt 0x0
	v_cmp_gt_u64_e32 vcc_lo, s[0:1], v[98:99]
	s_delay_alu instid0(VALU_DEP_2) | instskip(NEXT) | instid1(VALU_DEP_1)
	v_cmp_gt_u32_e64 s0, 0x4b, v100
	s_and_b32 s1, vcc_lo, s0
	s_wait_alu 0xfffe
	s_and_saveexec_b32 s10, s1
	s_cbranch_execz .LBB0_10
; %bb.9:
	s_add_nc_u64 s[12:13], s[12:13], s[2:3]
	v_add_nc_u32_e32 v14, 0x4b, v100
	s_load_b64 s[12:13], s[12:13], 0x0
	v_mad_co_u64_u32 v[0:1], null, s18, v100, 0
	v_add_nc_u32_e32 v15, 0x96, v100
	s_delay_alu instid0(VALU_DEP_3) | instskip(SKIP_2) | instid1(VALU_DEP_4)
	v_mad_co_u64_u32 v[2:3], null, s18, v14, 0
	v_lshlrev_b64_e32 v[4:5], 4, v[4:5]
	v_add_nc_u32_e32 v19, 0x12c, v100
	v_mad_co_u64_u32 v[6:7], null, s18, v15, 0
	v_add_nc_u32_e32 v21, 0x2a3, v100
	v_add_nc_u32_e32 v24, 0x41a, v100
	v_mad_co_u64_u32 v[12:13], null, s19, v100, v[1:2]
	v_add_nc_u32_e32 v20, 0x258, v100
	s_wait_kmcnt 0x0
	v_mul_lo_u32 v17, s13, v98
	v_mul_lo_u32 v18, s12, v99
	v_mad_co_u64_u32 v[8:9], null, s12, v98, 0
	v_mov_b32_e32 v1, v12
	v_mad_co_u64_u32 v[12:13], null, s19, v14, v[3:4]
	v_add_nc_u32_e32 v16, 0xe1, v100
	s_delay_alu instid0(VALU_DEP_3) | instskip(SKIP_1) | instid1(VALU_DEP_4)
	v_lshlrev_b64_e32 v[0:1], 4, v[0:1]
	v_add3_u32 v9, v9, v18, v17
	v_dual_mov_b32 v3, v12 :: v_dual_add_nc_u32 v18, 0x1c2, v100
	s_delay_alu instid0(VALU_DEP_4) | instskip(NEXT) | instid1(VALU_DEP_3)
	v_mad_co_u64_u32 v[10:11], null, s18, v16, 0
	v_lshlrev_b64_e32 v[8:9], 4, v[8:9]
	s_delay_alu instid0(VALU_DEP_3) | instskip(NEXT) | instid1(VALU_DEP_2)
	v_lshlrev_b64_e32 v[2:3], 4, v[2:3]
	v_mad_co_u64_u32 v[13:14], null, s19, v15, v[7:8]
	v_add_co_u32 v7, s1, s4, v8
	s_wait_alu 0xf1ff
	s_delay_alu instid0(VALU_DEP_4) | instskip(SKIP_1) | instid1(VALU_DEP_3)
	v_add_co_ci_u32_e64 v8, s1, s5, v9, s1
	v_add_nc_u32_e32 v14, 0x177, v100
	v_add_co_u32 v26, s1, v7, v4
	s_wait_alu 0xf1ff
	s_delay_alu instid0(VALU_DEP_3) | instskip(SKIP_1) | instid1(VALU_DEP_3)
	v_add_co_ci_u32_e64 v27, s1, v8, v5, s1
	v_mad_co_u64_u32 v[8:9], null, s18, v19, 0
	v_add_co_u32 v0, s1, v26, v0
	s_wait_alu 0xf1ff
	s_delay_alu instid0(VALU_DEP_3)
	v_add_co_ci_u32_e64 v1, s1, v27, v1, s1
	v_add_co_u32 v4, s1, v26, v2
	v_mov_b32_e32 v7, v13
	s_wait_alu 0xf1ff
	v_add_co_ci_u32_e64 v5, s1, v27, v3, s1
	v_mad_co_u64_u32 v[11:12], null, s19, v16, v[11:12]
	s_clause 0x1
	global_load_b128 v[0:3], v[0:1], off
	global_load_b128 v[64:67], v[4:5], off
	v_lshlrev_b64_e32 v[4:5], 4, v[6:7]
	v_mov_b32_e32 v6, v9
	v_mad_co_u64_u32 v[12:13], null, s18, v14, 0
	v_lshlrev_b64_e32 v[10:11], 4, v[10:11]
	s_delay_alu instid0(VALU_DEP_3)
	v_mad_co_u64_u32 v[6:7], null, s19, v19, v[6:7]
	v_add_nc_u32_e32 v19, 0x20d, v100
	v_add_co_u32 v4, s1, v26, v4
	v_mov_b32_e32 v7, v13
	s_wait_alu 0xf1ff
	v_add_co_ci_u32_e64 v5, s1, v27, v5, s1
	v_mov_b32_e32 v9, v6
	v_mad_co_u64_u32 v[16:17], null, s18, v19, 0
	v_mad_co_u64_u32 v[6:7], null, s19, v14, v[7:8]
	;; [unrolled: 1-line block ×3, first 2 shown]
	v_add_co_u32 v10, s1, v26, v10
	s_wait_alu 0xf1ff
	v_add_co_ci_u32_e64 v11, s1, v27, v11, s1
	s_delay_alu instid0(VALU_DEP_4) | instskip(SKIP_2) | instid1(VALU_DEP_3)
	v_mov_b32_e32 v13, v6
	v_lshlrev_b64_e32 v[6:7], 4, v[8:9]
	v_mov_b32_e32 v8, v15
	v_lshlrev_b64_e32 v[12:13], 4, v[12:13]
	s_delay_alu instid0(VALU_DEP_2)
	v_mad_co_u64_u32 v[8:9], null, s19, v18, v[8:9]
	v_mov_b32_e32 v9, v17
	v_add_co_u32 v6, s1, v26, v6
	s_wait_alu 0xf1ff
	v_add_co_ci_u32_e64 v7, s1, v27, v7, s1
	v_add_co_u32 v12, s1, v26, v12
	v_mov_b32_e32 v15, v8
	v_mad_co_u64_u32 v[8:9], null, s19, v19, v[9:10]
	v_mad_co_u64_u32 v[18:19], null, s18, v20, 0
	s_wait_alu 0xf1ff
	v_add_co_ci_u32_e64 v13, s1, v27, v13, s1
	s_clause 0x3
	global_load_b128 v[60:63], v[4:5], off
	global_load_b128 v[56:59], v[10:11], off
	;; [unrolled: 1-line block ×4, first 2 shown]
	v_mov_b32_e32 v17, v8
	v_mad_co_u64_u32 v[7:8], null, s18, v21, 0
	v_mov_b32_e32 v6, v19
	s_delay_alu instid0(VALU_DEP_3) | instskip(SKIP_1) | instid1(VALU_DEP_3)
	v_lshlrev_b64_e32 v[9:10], 4, v[16:17]
	v_add_nc_u32_e32 v16, 0x2ee, v100
	v_mad_co_u64_u32 v[11:12], null, s19, v20, v[6:7]
	v_add_nc_u32_e32 v20, 0x339, v100
	v_lshlrev_b64_e32 v[4:5], 4, v[14:15]
	v_mov_b32_e32 v6, v8
	v_mad_co_u64_u32 v[12:13], null, s18, v16, 0
	s_delay_alu instid0(VALU_DEP_4) | instskip(NEXT) | instid1(VALU_DEP_4)
	v_mad_co_u64_u32 v[14:15], null, s18, v20, 0
	v_add_co_u32 v4, s1, v26, v4
	s_wait_alu 0xf1ff
	v_add_co_ci_u32_e64 v5, s1, v27, v5, s1
	v_add_co_u32 v8, s1, v26, v9
	s_wait_alu 0xf1ff
	v_add_co_ci_u32_e64 v9, s1, v27, v10, s1
	v_mov_b32_e32 v19, v11
	v_mad_co_u64_u32 v[10:11], null, s19, v21, v[6:7]
	v_mov_b32_e32 v6, v13
	s_clause 0x1
	global_load_b128 v[48:51], v[4:5], off
	global_load_b128 v[36:39], v[8:9], off
	v_mad_co_u64_u32 v[16:17], null, s19, v16, v[6:7]
	v_mov_b32_e32 v6, v15
	v_mov_b32_e32 v8, v10
	v_lshlrev_b64_e32 v[4:5], 4, v[18:19]
	s_delay_alu instid0(VALU_DEP_2) | instskip(SKIP_1) | instid1(VALU_DEP_3)
	v_lshlrev_b64_e32 v[7:8], 4, v[7:8]
	v_dual_mov_b32 v13, v16 :: v_dual_add_nc_u32 v16, 0x384, v100
	v_add_co_u32 v4, s1, v26, v4
	s_wait_alu 0xf1ff
	s_delay_alu instid0(VALU_DEP_4) | instskip(NEXT) | instid1(VALU_DEP_4)
	v_add_co_ci_u32_e64 v5, s1, v27, v5, s1
	v_mad_co_u64_u32 v[9:10], null, s19, v20, v[6:7]
	v_lshlrev_b64_e32 v[10:11], 4, v[12:13]
	v_mad_co_u64_u32 v[12:13], null, s18, v16, 0
	v_add_co_u32 v6, s1, v26, v7
	s_wait_alu 0xf1ff
	v_add_co_ci_u32_e64 v7, s1, v27, v8, s1
	v_mov_b32_e32 v15, v9
	s_clause 0x1
	global_load_b128 v[32:35], v[4:5], off
	global_load_b128 v[20:23], v[6:7], off
	v_mov_b32_e32 v6, v13
	v_add_co_u32 v4, s1, v26, v10
	v_lshlrev_b64_e32 v[7:8], 4, v[14:15]
	s_wait_alu 0xf1ff
	v_add_co_ci_u32_e64 v5, s1, v27, v11, s1
	v_mad_co_u64_u32 v[14:15], null, s18, v24, 0
	s_delay_alu instid0(VALU_DEP_3)
	v_mad_co_u64_u32 v[9:10], null, s19, v16, v[6:7]
	v_add_nc_u32_e32 v18, 0x3cf, v100
	v_add_co_u32 v6, s1, v26, v7
	s_wait_alu 0xf1ff
	v_add_co_ci_u32_e64 v7, s1, v27, v8, s1
	s_clause 0x1
	global_load_b128 v[40:43], v[4:5], off
	global_load_b128 v[28:31], v[6:7], off
	v_mov_b32_e32 v13, v9
	v_mad_co_u64_u32 v[10:11], null, s18, v18, 0
	v_add_nc_u32_e32 v69, 0x465, v100
	v_mov_b32_e32 v9, v15
	s_delay_alu instid0(VALU_DEP_4) | instskip(NEXT) | instid1(VALU_DEP_4)
	v_lshlrev_b64_e32 v[5:6], 4, v[12:13]
	v_mov_b32_e32 v8, v11
	s_delay_alu instid0(VALU_DEP_4) | instskip(NEXT) | instid1(VALU_DEP_2)
	v_mad_co_u64_u32 v[16:17], null, s18, v69, 0
	v_mad_co_u64_u32 v[18:19], null, s19, v18, v[8:9]
	v_add_nc_u32_e32 v70, 0x4b0, v100
	v_mad_co_u64_u32 v[8:9], null, s19, v24, v[9:10]
	s_delay_alu instid0(VALU_DEP_3) | instskip(NEXT) | instid1(VALU_DEP_3)
	v_dual_mov_b32 v4, v17 :: v_dual_mov_b32 v11, v18
	v_mad_co_u64_u32 v[24:25], null, s18, v70, 0
	s_delay_alu instid0(VALU_DEP_3) | instskip(NEXT) | instid1(VALU_DEP_3)
	v_mov_b32_e32 v15, v8
	v_mad_co_u64_u32 v[7:8], null, s19, v69, v[4:5]
	v_add_co_u32 v5, s1, v26, v5
	v_lshlrev_b64_e32 v[8:9], 4, v[10:11]
	v_mov_b32_e32 v4, v25
	s_wait_alu 0xf1ff
	v_add_co_ci_u32_e64 v6, s1, v27, v6, s1
	v_mov_b32_e32 v17, v7
	s_delay_alu instid0(VALU_DEP_3)
	v_mad_co_u64_u32 v[10:11], null, s19, v70, v[4:5]
	v_lshlrev_b64_e32 v[11:12], 4, v[14:15]
	v_add_co_u32 v7, s1, v26, v8
	s_wait_alu 0xf1ff
	v_add_co_ci_u32_e64 v8, s1, v27, v9, s1
	v_lshlrev_b64_e32 v[13:14], 4, v[16:17]
	v_mov_b32_e32 v25, v10
	v_add_co_u32 v9, s1, v26, v11
	s_wait_alu 0xf1ff
	v_add_co_ci_u32_e64 v10, s1, v27, v12, s1
	s_delay_alu instid0(VALU_DEP_3) | instskip(SKIP_3) | instid1(VALU_DEP_3)
	v_lshlrev_b64_e32 v[11:12], 4, v[24:25]
	v_add_co_u32 v69, s1, v26, v13
	s_wait_alu 0xf1ff
	v_add_co_ci_u32_e64 v70, s1, v27, v14, s1
	v_add_co_u32 v71, s1, v26, v11
	s_wait_alu 0xf1ff
	v_add_co_ci_u32_e64 v72, s1, v27, v12, s1
	s_clause 0x4
	global_load_b128 v[24:27], v[5:6], off
	global_load_b128 v[16:19], v[7:8], off
	;; [unrolled: 1-line block ×5, first 2 shown]
.LBB0_10:
	s_wait_alu 0xfffe
	s_or_b32 exec_lo, exec_lo, s10
	v_mul_hi_u32 v69, 0xaaaaaaab, v68
	s_delay_alu instid0(VALU_DEP_1) | instskip(NEXT) | instid1(VALU_DEP_1)
	v_lshrrev_b32_e32 v69, 1, v69
	v_lshl_add_u32 v69, v69, 1, v69
	s_delay_alu instid0(VALU_DEP_1) | instskip(NEXT) | instid1(VALU_DEP_1)
	v_sub_nc_u32_e32 v68, v68, v69
	v_mul_u32_u24_e32 v68, 0x4fb, v68
	s_delay_alu instid0(VALU_DEP_1)
	v_lshlrev_b32_e32 v101, 3, v68
	s_and_saveexec_b32 s1, s0
	s_cbranch_execz .LBB0_12
; %bb.11:
	s_wait_loadcnt 0xf
	v_add_f64_e32 v[68:69], v[64:65], v[0:1]
	s_wait_loadcnt 0x0
	v_add_f64_e64 v[70:71], v[66:67], -v[6:7]
	s_mov_b32 s28, 0x4363dd80
	s_mov_b32 s40, 0x923c349f
	;; [unrolled: 1-line block ×8, first 2 shown]
	s_wait_alu 0xfffe
	s_mov_b32 s42, s36
	s_mov_b32 s47, 0xbfe9895b
	;; [unrolled: 1-line block ×3, first 2 shown]
	v_add_f64_e64 v[72:73], v[62:63], -v[10:11]
	v_add_f64_e32 v[74:75], v[4:5], v[64:65]
	s_mov_b32 s35, 0xbfc7851a
	s_mov_b32 s30, 0x7c9e640b
	;; [unrolled: 1-line block ×8, first 2 shown]
	s_wait_alu 0xfffe
	s_mov_b32 s56, s30
	s_mov_b32 s58, s44
	;; [unrolled: 1-line block ×15, first 2 shown]
	v_add_f64_e32 v[68:69], v[60:61], v[68:69]
	v_mul_f64_e32 v[108:109], s[28:29], v[70:71]
	v_mul_f64_e32 v[110:111], s[40:41], v[70:71]
	;; [unrolled: 1-line block ×8, first 2 shown]
	s_mov_b32 s52, s28
	s_mov_b32 s13, 0xbfe348c8
	;; [unrolled: 1-line block ×3, first 2 shown]
	v_add_f64_e32 v[76:77], v[8:9], v[60:61]
	s_mov_b32 s19, 0xbfef7484
	v_add_f64_e64 v[78:79], v[58:59], -v[14:15]
	v_mul_f64_e32 v[118:119], s[30:31], v[72:73]
	v_mul_f64_e32 v[120:121], s[48:49], v[72:73]
	;; [unrolled: 1-line block ×4, first 2 shown]
	s_wait_alu 0xfffe
	v_mul_f64_e32 v[150:151], s[38:39], v[72:73]
	v_mul_f64_e32 v[162:163], s[46:47], v[72:73]
	;; [unrolled: 1-line block ×4, first 2 shown]
	s_mov_b32 s10, 0x2b2883cd
	s_mov_b32 s26, 0x75d4884
	;; [unrolled: 1-line block ×8, first 2 shown]
	v_add_f64_e32 v[80:81], v[12:13], v[56:57]
	v_add_f64_e64 v[82:83], v[54:55], -v[18:19]
	s_mov_b32 s55, 0x3fe9895b
	s_mov_b32 s54, s46
	v_add_f64_e32 v[84:85], v[16:17], v[52:53]
	v_add_f64_e64 v[86:87], v[46:47], -v[26:27]
	v_add_f64_e32 v[88:89], v[24:25], v[44:45]
	v_add_f64_e32 v[68:69], v[56:57], v[68:69]
	v_fma_f64 v[172:173], v[74:75], s[4:5], -v[108:109]
	v_fma_f64 v[174:175], v[74:75], s[20:21], -v[110:111]
	;; [unrolled: 1-line block ×4, first 2 shown]
	v_fma_f64 v[180:181], v[74:75], s[18:19], v[116:117]
	v_fma_f64 v[116:117], v[74:75], s[18:19], -v[116:117]
	v_fma_f64 v[108:109], v[74:75], s[4:5], v[108:109]
	v_fma_f64 v[114:115], v[74:75], s[12:13], v[114:115]
	v_fma_f64 v[110:111], v[74:75], s[20:21], v[110:111]
	v_fma_f64 v[112:113], v[74:75], s[22:23], v[112:113]
	s_wait_alu 0xfffe
	v_fma_f64 v[182:183], v[74:75], s[10:11], v[122:123]
	v_fma_f64 v[122:123], v[74:75], s[10:11], -v[122:123]
	v_fma_f64 v[184:185], v[74:75], s[26:27], v[126:127]
	v_fma_f64 v[186:187], v[74:75], s[24:25], -v[70:71]
	v_fma_f64 v[126:127], v[74:75], s[26:27], -v[126:127]
	v_fma_f64 v[70:71], v[74:75], s[24:25], v[70:71]
	v_mul_f64_e32 v[130:131], s[42:43], v[78:79]
	v_mul_f64_e32 v[132:133], s[50:51], v[78:79]
	;; [unrolled: 1-line block ×8, first 2 shown]
	v_fma_f64 v[194:195], v[76:77], s[10:11], -v[118:119]
	v_fma_f64 v[196:197], v[76:77], s[20:21], -v[120:121]
	;; [unrolled: 1-line block ×4, first 2 shown]
	v_fma_f64 v[202:203], v[76:77], s[24:25], v[150:151]
	v_fma_f64 v[150:151], v[76:77], s[24:25], -v[150:151]
	v_fma_f64 v[118:119], v[76:77], s[10:11], v[118:119]
	v_fma_f64 v[120:121], v[76:77], s[20:21], v[120:121]
	;; [unrolled: 1-line block ×5, first 2 shown]
	v_fma_f64 v[162:163], v[76:77], s[12:13], -v[162:163]
	v_fma_f64 v[206:207], v[76:77], s[22:23], v[166:167]
	v_add_f64_e32 v[68:69], v[52:53], v[68:69]
	v_fma_f64 v[166:167], v[76:77], s[22:23], -v[166:167]
	v_fma_f64 v[208:209], v[76:77], s[26:27], v[72:73]
	v_fma_f64 v[72:73], v[76:77], s[26:27], -v[72:73]
	v_add_f64_e32 v[76:77], v[0:1], v[172:173]
	v_add_f64_e32 v[172:173], v[0:1], v[174:175]
	;; [unrolled: 1-line block ×16, first 2 shown]
	v_mul_f64_e32 v[138:139], s[54:55], v[82:83]
	v_mul_f64_e32 v[140:141], s[28:29], v[82:83]
	;; [unrolled: 1-line block ×8, first 2 shown]
	v_fma_f64 v[214:215], v[80:81], s[22:23], -v[130:131]
	v_fma_f64 v[216:217], v[80:81], s[24:25], -v[132:133]
	;; [unrolled: 1-line block ×4, first 2 shown]
	v_fma_f64 v[222:223], v[80:81], s[4:5], v[188:189]
	v_fma_f64 v[188:189], v[80:81], s[4:5], -v[188:189]
	v_fma_f64 v[130:131], v[80:81], s[22:23], v[130:131]
	v_fma_f64 v[132:133], v[80:81], s[24:25], v[132:133]
	;; [unrolled: 1-line block ×4, first 2 shown]
	v_add_f64_e32 v[68:69], v[44:45], v[68:69]
	v_fma_f64 v[224:225], v[80:81], s[18:19], v[190:191]
	v_fma_f64 v[190:191], v[80:81], s[18:19], -v[190:191]
	v_fma_f64 v[226:227], v[80:81], s[12:13], v[192:193]
	v_fma_f64 v[192:193], v[80:81], s[12:13], -v[192:193]
	;; [unrolled: 2-line block ×3, first 2 shown]
	v_add_f64_e32 v[80:81], v[198:199], v[172:173]
	v_add_f64_e32 v[172:173], v[200:201], v[174:175]
	;; [unrolled: 1-line block ×16, first 2 shown]
	v_add_f64_e64 v[90:91], v[50:51], -v[30:31]
	v_mul_f64_e32 v[152:153], s[34:35], v[86:87]
	v_mul_f64_e32 v[154:155], s[56:57], v[86:87]
	v_fma_f64 v[166:167], v[84:85], s[12:13], -v[138:139]
	v_fma_f64 v[178:179], v[84:85], s[4:5], -v[140:141]
	v_fma_f64 v[180:181], v[84:85], s[10:11], -v[142:143]
	v_fma_f64 v[182:183], v[84:85], s[24:25], -v[144:145]
	v_fma_f64 v[184:185], v[84:85], s[26:27], v[186:187]
	v_fma_f64 v[186:187], v[84:85], s[26:27], -v[186:187]
	v_fma_f64 v[138:139], v[84:85], s[12:13], v[138:139]
	v_fma_f64 v[140:141], v[84:85], s[4:5], v[140:141]
	;; [unrolled: 1-line block ×5, first 2 shown]
	v_fma_f64 v[196:197], v[84:85], s[20:21], -v[210:211]
	v_add_f64_e32 v[68:69], v[48:49], v[68:69]
	v_fma_f64 v[198:199], v[84:85], s[18:19], v[212:213]
	v_fma_f64 v[200:201], v[84:85], s[18:19], -v[212:213]
	v_fma_f64 v[202:203], v[84:85], s[22:23], -v[82:83]
	v_fma_f64 v[82:83], v[84:85], s[22:23], v[82:83]
	v_mul_f64_e32 v[146:147], s[50:51], v[86:87]
	v_mul_f64_e32 v[148:149], s[36:37], v[86:87]
	v_add_f64_e32 v[80:81], v[218:219], v[80:81]
	v_add_f64_e32 v[84:85], v[220:221], v[172:173]
	v_mul_f64_e32 v[128:129], s[46:47], v[86:87]
	v_mul_f64_e32 v[150:151], s[44:45], v[86:87]
	;; [unrolled: 1-line block ×4, first 2 shown]
	v_add_f64_e32 v[76:77], v[214:215], v[76:77]
	v_add_f64_e32 v[172:173], v[216:217], v[174:175]
	;; [unrolled: 1-line block ×15, first 2 shown]
	v_add_f64_e64 v[94:95], v[38:39], -v[42:43]
	v_mul_f64_e32 v[160:161], s[36:37], v[90:91]
	v_mul_f64_e32 v[164:165], s[28:29], v[90:91]
	v_fma_f64 v[188:189], v[88:89], s[18:19], -v[152:153]
	v_fma_f64 v[190:191], v[88:89], s[10:11], -v[154:155]
	v_mul_f64_e32 v[156:157], s[34:35], v[90:91]
	v_mul_f64_e32 v[158:159], s[58:59], v[90:91]
	v_fma_f64 v[152:153], v[88:89], s[18:19], v[152:153]
	v_fma_f64 v[154:155], v[88:89], s[10:11], v[154:155]
	v_mul_f64_e32 v[130:131], s[30:31], v[90:91]
	v_add_f64_e32 v[68:69], v[36:37], v[68:69]
	v_mul_f64_e32 v[132:133], s[50:51], v[90:91]
	v_mul_f64_e32 v[134:135], s[48:49], v[90:91]
	v_mul_f64_e32 v[90:91], s[46:47], v[90:91]
	v_add_f64_e32 v[102:103], v[40:41], v[36:37]
	v_fma_f64 v[136:137], v[88:89], s[24:25], -v[146:147]
	v_fma_f64 v[176:177], v[88:89], s[22:23], -v[148:149]
	v_add_f64_e32 v[80:81], v[180:181], v[80:81]
	v_add_f64_e32 v[84:85], v[182:183], v[84:85]
	v_fma_f64 v[192:193], v[88:89], s[12:13], v[128:129]
	v_fma_f64 v[128:129], v[88:89], s[12:13], -v[128:129]
	v_fma_f64 v[146:147], v[88:89], s[24:25], v[146:147]
	v_fma_f64 v[148:149], v[88:89], s[22:23], v[148:149]
	;; [unrolled: 1-line block ×3, first 2 shown]
	v_fma_f64 v[150:151], v[88:89], s[26:27], -v[150:151]
	v_fma_f64 v[206:207], v[88:89], s[4:5], v[162:163]
	v_fma_f64 v[162:163], v[88:89], s[4:5], -v[162:163]
	v_fma_f64 v[208:209], v[88:89], s[20:21], -v[86:87]
	v_fma_f64 v[86:87], v[88:89], s[20:21], v[86:87]
	v_add_f64_e32 v[76:77], v[166:167], v[76:77]
	v_add_f64_e32 v[88:89], v[178:179], v[172:173]
	;; [unrolled: 1-line block ×14, first 2 shown]
	v_add_f64_e64 v[104:105], v[34:35], -v[22:23]
	v_mul_f64_e32 v[74:75], s[50:51], v[94:95]
	v_mul_f64_e32 v[70:71], s[54:55], v[94:95]
	v_fma_f64 v[174:175], v[92:93], s[22:23], -v[160:161]
	v_fma_f64 v[178:179], v[92:93], s[4:5], -v[164:165]
	v_add_f64_e32 v[68:69], v[32:33], v[68:69]
	v_mul_f64_e32 v[168:169], s[44:45], v[94:95]
	v_mul_f64_e32 v[170:171], s[34:35], v[94:95]
	v_fma_f64 v[144:145], v[92:93], s[18:19], -v[156:157]
	v_fma_f64 v[172:173], v[92:93], s[26:27], -v[158:159]
	v_mul_f64_e32 v[138:139], s[40:41], v[94:95]
	v_mul_f64_e32 v[140:141], s[42:43], v[94:95]
	v_add_f64_e32 v[80:81], v[188:189], v[80:81]
	v_add_f64_e32 v[84:85], v[190:191], v[84:85]
	v_mul_f64_e32 v[142:143], s[30:31], v[94:95]
	v_mul_f64_e32 v[94:95], s[28:29], v[94:95]
	v_fma_f64 v[180:181], v[92:93], s[10:11], v[130:131]
	v_fma_f64 v[130:131], v[92:93], s[10:11], -v[130:131]
	v_fma_f64 v[156:157], v[92:93], s[18:19], v[156:157]
	v_fma_f64 v[158:159], v[92:93], s[26:27], v[158:159]
	v_fma_f64 v[160:161], v[92:93], s[22:23], v[160:161]
	v_fma_f64 v[164:165], v[92:93], s[4:5], v[164:165]
	v_fma_f64 v[182:183], v[92:93], s[24:25], v[132:133]
	v_fma_f64 v[132:133], v[92:93], s[24:25], -v[132:133]
	v_add_f64_e32 v[76:77], v[136:137], v[76:77]
	v_add_f64_e32 v[88:89], v[176:177], v[88:89]
	v_fma_f64 v[184:185], v[92:93], s[20:21], v[134:135]
	v_fma_f64 v[134:135], v[92:93], s[20:21], -v[134:135]
	v_fma_f64 v[186:187], v[92:93], s[12:13], -v[90:91]
	v_fma_f64 v[90:91], v[92:93], s[12:13], v[90:91]
	v_add_f64_e32 v[92:93], v[192:193], v[166:167]
	v_add_f64_e32 v[116:117], v[128:129], v[116:117]
	;; [unrolled: 1-line block ×14, first 2 shown]
	v_mul_f64_e32 v[124:125], s[46:47], v[104:105]
	v_mul_f64_e32 v[82:83], s[44:45], v[104:105]
	v_fma_f64 v[152:153], v[102:103], s[24:25], -v[74:75]
	v_fma_f64 v[154:155], v[102:103], s[12:13], -v[70:71]
	v_mul_f64_e32 v[126:127], s[40:41], v[104:105]
	v_mul_f64_e32 v[86:87], s[30:31], v[104:105]
	v_add_f64_e32 v[80:81], v[174:175], v[80:81]
	v_add_f64_e32 v[84:85], v[178:179], v[84:85]
	v_fma_f64 v[148:149], v[102:103], s[26:27], -v[168:169]
	v_fma_f64 v[150:151], v[102:103], s[18:19], -v[170:171]
	v_mul_f64_e32 v[128:129], s[36:37], v[104:105]
	v_fma_f64 v[162:163], v[102:103], s[20:21], v[138:139]
	v_fma_f64 v[138:139], v[102:103], s[20:21], -v[138:139]
	v_fma_f64 v[166:167], v[102:103], s[26:27], v[168:169]
	v_fma_f64 v[168:169], v[102:103], s[18:19], v[170:171]
	;; [unrolled: 1-line block ×5, first 2 shown]
	v_add_f64_e32 v[76:77], v[144:145], v[76:77]
	v_add_f64_e32 v[88:89], v[172:173], v[88:89]
	v_fma_f64 v[140:141], v[102:103], s[22:23], -v[140:141]
	v_fma_f64 v[176:177], v[102:103], s[10:11], v[142:143]
	v_fma_f64 v[142:143], v[102:103], s[10:11], -v[142:143]
	v_fma_f64 v[188:189], v[102:103], s[4:5], -v[94:95]
	v_fma_f64 v[94:95], v[102:103], s[4:5], v[94:95]
	v_add_f64_e32 v[92:93], v[180:181], v[92:93]
	v_add_f64_e32 v[102:103], v[130:131], v[116:117]
	v_mul_f64_e32 v[136:137], s[28:29], v[104:105]
	v_mul_f64_e32 v[146:147], s[38:39], v[104:105]
	;; [unrolled: 1-line block ×3, first 2 shown]
	v_add_f64_e32 v[108:109], v[156:157], v[108:109]
	v_add_f64_e32 v[114:115], v[158:159], v[114:115]
	v_add_f64_e32 v[110:111], v[160:161], v[110:111]
	v_add_f64_e32 v[112:113], v[164:165], v[112:113]
	v_add_f64_e32 v[116:117], v[182:183], v[118:119]
	v_add_f64_e32 v[118:119], v[132:133], v[120:121]
	v_add_f64_e32 v[120:121], v[184:185], v[122:123]
	v_add_f64_e32 v[68:69], v[40:41], v[68:69]
	v_add_f64_e32 v[72:73], v[186:187], v[72:73]
	v_add_f64_e32 v[78:79], v[134:135], v[78:79]
	v_add_f64_e32 v[0:1], v[90:91], v[0:1]
	v_fma_f64 v[122:123], v[106:107], s[12:13], -v[124:125]
	v_fma_f64 v[130:131], v[106:107], s[26:27], -v[82:83]
	;; [unrolled: 1-line block ×3, first 2 shown]
	v_add_f64_e32 v[80:81], v[152:153], v[80:81]
	v_add_f64_e32 v[84:85], v[154:155], v[84:85]
	v_fma_f64 v[132:133], v[106:107], s[10:11], -v[86:87]
	v_fma_f64 v[126:127], v[106:107], s[20:21], v[126:127]
	v_fma_f64 v[134:135], v[106:107], s[22:23], v[128:129]
	v_fma_f64 v[128:129], v[106:107], s[22:23], -v[128:129]
	v_fma_f64 v[86:87], v[106:107], s[10:11], v[86:87]
	v_fma_f64 v[124:125], v[106:107], s[12:13], v[124:125]
	;; [unrolled: 1-line block ×3, first 2 shown]
	v_add_f64_e32 v[76:77], v[148:149], v[76:77]
	v_add_f64_e32 v[88:89], v[150:151], v[88:89]
	v_add_f64_e32 v[92:93], v[162:163], v[92:93]
	v_add_f64_e32 v[102:103], v[138:139], v[102:103]
	v_fma_f64 v[144:145], v[106:107], s[4:5], v[136:137]
	v_fma_f64 v[136:137], v[106:107], s[4:5], -v[136:137]
	v_fma_f64 v[156:157], v[106:107], s[24:25], v[146:147]
	v_fma_f64 v[146:147], v[106:107], s[24:25], -v[146:147]
	v_fma_f64 v[158:159], v[106:107], s[18:19], -v[104:105]
	v_fma_f64 v[104:105], v[106:107], s[18:19], v[104:105]
	v_add_f64_e32 v[106:107], v[166:167], v[108:109]
	v_add_f64_e32 v[108:109], v[168:169], v[114:115]
	;; [unrolled: 1-line block ×28, first 2 shown]
	v_mul_u32_u24_e32 v104, 0x88, v100
	s_delay_alu instid0(VALU_DEP_1) | instskip(SKIP_1) | instid1(VALU_DEP_1)
	v_add3_u32 v104, 0, v104, v101
	v_add_f64_e32 v[68:69], v[16:17], v[68:69]
	v_add_f64_e32 v[68:69], v[12:13], v[68:69]
	s_delay_alu instid0(VALU_DEP_1) | instskip(NEXT) | instid1(VALU_DEP_1)
	v_add_f64_e32 v[68:69], v[8:9], v[68:69]
	v_add_f64_e32 v[68:69], v[4:5], v[68:69]
	ds_store_2addr_b64 v104, v[84:85], v[80:81] offset0:4 offset1:5
	ds_store_2addr_b64 v104, v[88:89], v[76:77] offset0:6 offset1:7
	;; [unrolled: 1-line block ×6, first 2 shown]
	ds_store_2addr_b64 v104, v[68:69], v[72:73] offset1:1
	ds_store_2addr_b64 v104, v[78:79], v[102:103] offset0:2 offset1:3
	ds_store_b64 v104, v[0:1] offset:128
.LBB0_12:
	s_wait_alu 0xfffe
	s_or_b32 exec_lo, exec_lo, s1
	s_wait_loadcnt 0x10
	v_lshlrev_b32_e32 v0, 3, v100
	global_wb scope:SCOPE_SE
	s_wait_loadcnt_dscnt 0x0
	s_barrier_signal -1
	s_barrier_wait -1
	global_inv scope:SCOPE_SE
	v_add_nc_u32_e32 v110, 0, v0
	v_add3_u32 v102, 0, v101, v0
	s_add_nc_u64 s[2:3], s[14:15], s[2:3]
	s_delay_alu instid0(VALU_DEP_2)
	v_add_nc_u32_e32 v103, v110, v101
	ds_load_b64 v[0:1], v102
	v_add_nc_u32_e32 v104, 0x800, v103
	v_add_nc_u32_e32 v105, 0x1400, v103
	;; [unrolled: 1-line block ×5, first 2 shown]
	ds_load_2addr_b64 v[68:71], v103 offset0:85 offset1:170
	v_add_nc_u32_e32 v108, 0x2000, v103
	ds_load_2addr_b64 v[92:95], v104 offset0:169 offset1:254
	ds_load_2addr_b64 v[76:79], v105 offset0:125 offset1:210
	;; [unrolled: 1-line block ×6, first 2 shown]
	global_wb scope:SCOPE_SE
	s_wait_dscnt 0x0
	s_barrier_signal -1
	s_barrier_wait -1
	global_inv scope:SCOPE_SE
	s_and_saveexec_b32 s33, s0
	s_cbranch_execz .LBB0_14
; %bb.13:
	v_add_f64_e32 v[111:112], v[66:67], v[2:3]
	v_add_f64_e64 v[4:5], v[64:65], -v[4:5]
	v_add_f64_e64 v[8:9], v[60:61], -v[8:9]
	s_mov_b32 s28, 0x5d8e7cdc
	s_mov_b32 s38, 0x2a9d6da3
	;; [unrolled: 1-line block ×13, first 2 shown]
	v_add_f64_e32 v[66:67], v[6:7], v[66:67]
	s_mov_b32 s41, 0xbfc7851a
	v_add_f64_e64 v[12:13], v[56:57], -v[12:13]
	v_add_f64_e64 v[16:17], v[52:53], -v[16:17]
	;; [unrolled: 1-line block ×3, first 2 shown]
	v_add_f64_e32 v[44:45], v[30:31], v[50:51]
	v_add_f64_e64 v[20:21], v[32:33], -v[20:21]
	s_mov_b32 s46, 0x7c9e640b
	s_mov_b32 s47, 0xbfeca52d
	v_add_f64_e64 v[28:29], v[48:49], -v[28:29]
	v_add_f64_e32 v[48:49], v[42:43], v[38:39]
	s_mov_b32 s0, 0x370991
	s_mov_b32 s4, 0x75d4884
	s_mov_b32 s12, 0x3259b75e
	s_mov_b32 s14, 0xc61f0d01
	s_mov_b32 s1, 0x3fedd6d0
	s_mov_b32 s5, 0x3fe7a5f6
	s_mov_b32 s13, 0x3fb79ee6
	s_mov_b32 s15, 0xbfd183b1
	s_mov_b32 s18, 0x6ed5f1bb
	s_mov_b32 s20, 0x910ea3b9
	s_mov_b32 s55, 0x3fe0d888
	v_add_f64_e32 v[111:112], v[62:63], v[111:112]
	s_wait_alu 0xfffe
	v_mul_f64_e32 v[32:33], s[28:29], v[4:5]
	v_mul_f64_e32 v[52:53], s[36:37], v[4:5]
	;; [unrolled: 1-line block ×4, first 2 shown]
	s_mov_b32 s51, 0x3feec746
	s_mov_b32 s35, 0x3feca52d
	;; [unrolled: 1-line block ×11, first 2 shown]
	v_add_f64_e32 v[62:63], v[10:11], v[62:63]
	v_mul_f64_e32 v[115:116], s[38:39], v[8:9]
	v_mul_f64_e32 v[117:118], s[36:37], v[8:9]
	;; [unrolled: 1-line block ×4, first 2 shown]
	s_wait_alu 0xfffe
	v_mul_f64_e32 v[123:124], s[50:51], v[8:9]
	v_mul_f64_e32 v[125:126], s[34:35], v[8:9]
	s_mov_b32 s10, 0x2b2883cd
	s_mov_b32 s11, 0x3fdc86fa
	v_add_f64_e64 v[36:37], v[36:37], -v[40:41]
	v_add_f64_e32 v[40:41], v[22:23], v[34:35]
	s_mov_b32 s57, 0x3fc7851a
	s_mov_b32 s43, 0x3fe58eea
	;; [unrolled: 1-line block ×4, first 2 shown]
	v_mul_f64_e32 v[127:128], s[46:47], v[12:13]
	v_mul_f64_e32 v[129:130], s[26:27], v[12:13]
	s_wait_alu 0xfffe
	v_mul_f64_e32 v[131:132], s[56:57], v[12:13]
	v_mul_f64_e32 v[133:134], s[50:51], v[12:13]
	;; [unrolled: 1-line block ×5, first 2 shown]
	v_add_f64_e32 v[111:112], v[58:59], v[111:112]
	v_fma_f64 v[159:160], v[66:67], s[0:1], v[32:33]
	v_fma_f64 v[163:164], v[66:67], s[12:13], v[52:53]
	v_fma_f64 v[52:53], v[66:67], s[12:13], -v[52:53]
	v_fma_f64 v[165:166], v[66:67], s[14:15], v[56:57]
	v_fma_f64 v[171:172], v[66:67], s[24:25], v[113:114]
	v_fma_f64 v[113:114], v[66:67], s[24:25], -v[113:114]
	v_fma_f64 v[56:57], v[66:67], s[14:15], -v[56:57]
	;; [unrolled: 1-line block ×3, first 2 shown]
	v_add_f64_e32 v[58:59], v[14:15], v[58:59]
	v_mul_f64_e32 v[12:13], s[30:31], v[12:13]
	s_mov_b32 s53, 0x3fe9895b
	s_mov_b32 s52, s26
	v_mul_f64_e32 v[141:142], s[36:37], v[16:17]
	v_mul_f64_e32 v[143:144], s[40:41], v[16:17]
	;; [unrolled: 1-line block ×4, first 2 shown]
	v_fma_f64 v[181:182], v[62:63], s[4:5], v[115:116]
	v_fma_f64 v[115:116], v[62:63], s[4:5], -v[115:116]
	v_fma_f64 v[183:184], v[62:63], s[12:13], v[117:118]
	v_fma_f64 v[117:118], v[62:63], s[12:13], -v[117:118]
	;; [unrolled: 2-line block ×6, first 2 shown]
	v_mul_f64_e32 v[149:150], s[46:47], v[16:17]
	v_mul_f64_e32 v[151:152], s[30:31], v[16:17]
	s_wait_alu 0xfffe
	v_mul_f64_e32 v[153:154], s[52:53], v[16:17]
	v_mul_f64_e32 v[16:17], s[42:43], v[16:17]
	s_mov_b32 s49, 0x3fefdd0d
	s_mov_b32 s48, s36
	v_mul_f64_e32 v[155:156], s[22:23], v[24:25]
	v_mul_f64_e32 v[157:158], s[54:55], v[24:25]
	v_mul_f64_e32 v[175:176], s[40:41], v[24:25]
	v_add_f64_e32 v[111:112], v[54:55], v[111:112]
	v_add_f64_e32 v[54:55], v[18:19], v[54:55]
	s_wait_alu 0xfffe
	v_mul_f64_e32 v[177:178], s[48:49], v[24:25]
	v_add_f64_e32 v[52:53], v[2:3], v[52:53]
	v_mul_f64_e32 v[179:180], s[28:29], v[24:25]
	v_mul_f64_e32 v[197:198], s[30:31], v[28:29]
	v_add_f64_e32 v[113:114], v[2:3], v[113:114]
	v_add_f64_e32 v[56:57], v[2:3], v[56:57]
	v_fma_f64 v[199:200], v[58:59], s[10:11], v[127:128]
	v_fma_f64 v[127:128], v[58:59], s[10:11], -v[127:128]
	v_fma_f64 v[201:202], v[58:59], s[18:19], v[129:130]
	v_fma_f64 v[129:130], v[58:59], s[18:19], -v[129:130]
	;; [unrolled: 2-line block ×8, first 2 shown]
	v_add_f64_e32 v[64:65], v[46:47], v[111:112]
	v_mul_f64_e32 v[111:112], s[30:31], v[4:5]
	v_add_f64_e32 v[46:47], v[26:27], v[46:47]
	v_add_f64_e32 v[52:53], v[121:122], v[52:53]
	s_delay_alu instid0(VALU_DEP_4)
	v_add_f64_e32 v[60:61], v[50:51], v[64:65]
	v_mul_f64_e32 v[50:51], s[38:39], v[4:5]
	v_mul_f64_e32 v[64:65], s[26:27], v[4:5]
	;; [unrolled: 1-line block ×3, first 2 shown]
	v_fma_f64 v[169:170], v[66:67], s[20:21], v[111:112]
	v_fma_f64 v[111:112], v[66:67], s[20:21], -v[111:112]
	v_add_f64_e32 v[52:53], v[133:134], v[52:53]
	v_mul_f64_e32 v[133:134], s[40:41], v[36:37]
	v_add_f64_e32 v[38:39], v[38:39], v[60:61]
	v_mul_f64_e32 v[60:61], s[54:55], v[8:9]
	v_mul_f64_e32 v[8:9], s[44:45], v[8:9]
	v_fma_f64 v[161:162], v[66:67], s[4:5], v[50:51]
	v_fma_f64 v[50:51], v[66:67], s[4:5], -v[50:51]
	v_fma_f64 v[167:168], v[66:67], s[18:19], v[64:65]
	v_fma_f64 v[64:65], v[66:67], s[18:19], -v[64:65]
	v_fma_f64 v[173:174], v[66:67], s[10:11], -v[4:5]
	v_fma_f64 v[4:5], v[66:67], s[10:11], v[4:5]
	v_add_f64_e32 v[111:112], v[2:3], v[111:112]
	v_mul_f64_e32 v[66:67], s[46:47], v[24:25]
	v_add_f64_e32 v[34:35], v[34:35], v[38:39]
	v_fma_f64 v[189:190], v[62:63], s[20:21], v[60:61]
	v_fma_f64 v[60:61], v[62:63], s[20:21], -v[60:61]
	v_fma_f64 v[195:196], v[62:63], s[0:1], v[8:9]
	v_fma_f64 v[8:9], v[62:63], s[0:1], -v[8:9]
	v_add_f64_e32 v[62:63], v[2:3], v[159:160]
	v_add_f64_e32 v[159:160], v[2:3], v[161:162]
	;; [unrolled: 1-line block ×13, first 2 shown]
	v_mul_f64_e32 v[38:39], s[42:43], v[24:25]
	v_mul_f64_e32 v[24:25], s[26:27], v[24:25]
	v_fma_f64 v[125:126], v[54:55], s[12:13], v[141:142]
	v_fma_f64 v[141:142], v[54:55], s[12:13], -v[141:142]
	v_mul_f64_e32 v[32:33], s[26:27], v[28:29]
	v_mul_f64_e32 v[173:174], s[28:29], v[28:29]
	v_add_f64_e32 v[22:23], v[22:23], v[34:35]
	v_mul_f64_e32 v[34:35], s[50:51], v[28:29]
	v_add_f64_e32 v[56:57], v[60:61], v[56:57]
	v_add_f64_e32 v[8:9], v[8:9], v[113:114]
	;; [unrolled: 1-line block ×14, first 2 shown]
	v_fma_f64 v[163:164], v[54:55], s[24:25], v[143:144]
	v_fma_f64 v[143:144], v[54:55], s[24:25], -v[143:144]
	v_fma_f64 v[165:166], v[54:55], s[14:15], v[145:146]
	v_fma_f64 v[145:146], v[54:55], s[14:15], -v[145:146]
	;; [unrolled: 2-line block ×7, first 2 shown]
	v_mul_f64_e32 v[113:114], s[38:39], v[28:29]
	v_mul_f64_e32 v[115:116], s[40:41], v[28:29]
	v_fma_f64 v[185:186], v[46:47], s[12:13], v[177:178]
	v_fma_f64 v[177:178], v[46:47], s[12:13], -v[177:178]
	v_fma_f64 v[187:188], v[46:47], s[0:1], v[179:180]
	v_fma_f64 v[179:180], v[46:47], s[0:1], -v[179:180]
	v_fma_f64 v[189:190], v[46:47], s[18:19], v[24:25]
	v_add_f64_e32 v[22:23], v[42:43], v[22:23]
	v_mul_f64_e32 v[42:43], s[48:49], v[28:29]
	v_add_f64_e32 v[56:57], v[135:136], v[56:57]
	v_mul_f64_e32 v[28:29], s[34:35], v[28:29]
	v_add_f64_e32 v[8:9], v[12:13], v[8:9]
	v_add_f64_e32 v[54:55], v[199:200], v[58:59]
	;; [unrolled: 1-line block ×14, first 2 shown]
	v_fma_f64 v[135:136], v[46:47], s[14:15], v[155:156]
	v_fma_f64 v[137:138], v[46:47], s[14:15], -v[155:156]
	v_fma_f64 v[139:140], v[46:47], s[20:21], v[157:158]
	v_fma_f64 v[155:156], v[46:47], s[20:21], -v[157:158]
	;; [unrolled: 2-line block ×5, first 2 shown]
	v_fma_f64 v[24:25], v[46:47], s[18:19], -v[24:25]
	v_add_f64_e32 v[52:53], v[147:148], v[52:53]
	v_mul_f64_e32 v[119:120], s[30:31], v[36:37]
	v_mul_f64_e32 v[111:112], s[36:37], v[36:37]
	;; [unrolled: 1-line block ×4, first 2 shown]
	v_fma_f64 v[147:148], v[44:45], s[0:1], -v[173:174]
	v_add_f64_e32 v[22:23], v[30:31], v[22:23]
	v_mul_f64_e32 v[30:31], s[34:35], v[36:37]
	v_add_f64_e32 v[8:9], v[16:17], v[8:9]
	v_add_f64_e32 v[46:47], v[125:126], v[54:55]
	;; [unrolled: 1-line block ×15, first 2 shown]
	v_fma_f64 v[141:142], v[44:45], s[18:19], v[32:33]
	v_fma_f64 v[32:33], v[44:45], s[18:19], -v[32:33]
	v_fma_f64 v[143:144], v[44:45], s[14:15], v[34:35]
	v_fma_f64 v[34:35], v[44:45], s[14:15], -v[34:35]
	v_fma_f64 v[145:146], v[44:45], s[0:1], v[173:174]
	v_fma_f64 v[149:150], v[44:45], s[20:21], v[197:198]
	v_fma_f64 v[151:152], v[44:45], s[20:21], -v[197:198]
	v_fma_f64 v[153:154], v[44:45], s[12:13], v[42:43]
	v_fma_f64 v[42:43], v[44:45], s[12:13], -v[42:43]
	;; [unrolled: 2-line block ×5, first 2 shown]
	v_add_f64_e32 v[52:53], v[66:67], v[52:53]
	v_mul_f64_e32 v[60:61], s[40:41], v[20:21]
	v_mul_f64_e32 v[125:126], s[44:45], v[20:21]
	;; [unrolled: 1-line block ×3, first 2 shown]
	v_add_f64_e32 v[22:23], v[26:27], v[22:23]
	v_mul_f64_e32 v[26:27], s[42:43], v[36:37]
	v_mul_f64_e32 v[36:37], s[22:23], v[36:37]
	v_add_f64_e32 v[8:9], v[24:25], v[8:9]
	v_add_f64_e32 v[44:45], v[135:136], v[46:47]
	;; [unrolled: 1-line block ×15, first 2 shown]
	v_mul_f64_e32 v[38:39], s[26:27], v[20:21]
	v_mul_f64_e32 v[56:57], s[34:35], v[20:21]
	;; [unrolled: 1-line block ×3, first 2 shown]
	v_fma_f64 v[123:124], v[48:49], s[20:21], v[119:120]
	v_fma_f64 v[119:120], v[48:49], s[20:21], -v[119:120]
	v_fma_f64 v[135:136], v[48:49], s[10:11], v[30:31]
	v_fma_f64 v[30:31], v[48:49], s[10:11], -v[30:31]
	;; [unrolled: 2-line block ×6, first 2 shown]
	v_add_f64_e32 v[18:19], v[18:19], v[22:23]
	v_mul_f64_e32 v[22:23], s[42:43], v[20:21]
	v_mul_f64_e32 v[20:21], s[48:49], v[20:21]
	v_fma_f64 v[159:160], v[48:49], s[4:5], v[26:27]
	v_fma_f64 v[26:27], v[48:49], s[4:5], -v[26:27]
	v_fma_f64 v[161:162], v[48:49], s[14:15], v[36:37]
	v_fma_f64 v[36:37], v[48:49], s[14:15], -v[36:37]
	v_add_f64_e32 v[44:45], v[141:142], v[44:45]
	v_add_f64_e32 v[46:47], v[143:144], v[46:47]
	;; [unrolled: 1-line block ×16, first 2 shown]
	v_fma_f64 v[28:29], v[40:41], s[24:25], -v[60:61]
	v_fma_f64 v[32:33], v[40:41], s[0:1], v[125:126]
	v_fma_f64 v[42:43], v[40:41], s[0:1], -v[125:126]
	v_fma_f64 v[66:67], v[40:41], s[20:21], -v[129:130]
	v_fma_f64 v[115:116], v[40:41], s[18:19], v[38:39]
	v_fma_f64 v[38:39], v[40:41], s[18:19], -v[38:39]
	v_fma_f64 v[117:118], v[40:41], s[10:11], v[56:57]
	;; [unrolled: 2-line block ×3, first 2 shown]
	v_fma_f64 v[121:122], v[40:41], s[14:15], -v[121:122]
	v_add_f64_e32 v[14:15], v[14:15], v[18:19]
	v_fma_f64 v[18:19], v[40:41], s[24:25], v[60:61]
	v_fma_f64 v[60:61], v[40:41], s[20:21], v[129:130]
	;; [unrolled: 1-line block ×3, first 2 shown]
	v_fma_f64 v[22:23], v[40:41], s[4:5], -v[22:23]
	v_fma_f64 v[129:130], v[40:41], s[12:13], v[20:21]
	v_fma_f64 v[20:21], v[40:41], s[12:13], -v[20:21]
	v_add_f64_e32 v[40:41], v[123:124], v[44:45]
	v_add_f64_e32 v[44:45], v[135:136], v[46:47]
	;; [unrolled: 1-line block ×34, first 2 shown]
	v_lshlrev_b32_e32 v10, 7, v100
	s_delay_alu instid0(VALU_DEP_1)
	v_add3_u32 v10, v110, v10, v101
	ds_store_2addr_b64 v10, v[30:31], v[32:33] offset0:4 offset1:5
	ds_store_2addr_b64 v10, v[34:35], v[40:41] offset0:6 offset1:7
	;; [unrolled: 1-line block ×7, first 2 shown]
	ds_store_2addr_b64 v10, v[6:7], v[14:15] offset1:1
	ds_store_b64 v10, v[2:3] offset:128
.LBB0_14:
	s_or_b32 exec_lo, exec_lo, s33
	v_add_nc_u32_e32 v50, 0x55, v100
	v_and_b32_e32 v3, 0xff, v100
	v_add_nc_u32_e32 v51, 0xaa, v100
	v_add_nc_u32_e32 v52, 0xff, v100
	;; [unrolled: 1-line block ×3, first 2 shown]
	v_and_b32_e32 v67, 0xff, v50
	v_mul_lo_u16 v3, 0xf1, v3
	v_and_b32_e32 v128, 0xff, v51
	v_and_b32_e32 v5, 0xffff, v52
	s_load_b64 s[2:3], s[2:3], 0x0
	v_mul_lo_u16 v4, 0xf1, v67
	v_lshrrev_b16 v129, 12, v3
	v_and_b32_e32 v3, 0xffff, v2
	v_mul_u32_u24_e32 v5, 0xf0f1, v5
	global_wb scope:SCOPE_SE
	s_wait_dscnt 0x0
	v_lshrrev_b16 v130, 12, v4
	v_mul_lo_u16 v4, 0xf1, v128
	v_mul_lo_u16 v6, v129, 17
	v_mul_u32_u24_e32 v3, 0xf0f1, v3
	v_lshrrev_b32_e32 v132, 20, v5
	v_mul_lo_u16 v7, v130, 17
	v_lshrrev_b16 v131, 12, v4
	v_sub_nc_u16 v4, v100, v6
	v_lshrrev_b32_e32 v133, 20, v3
	v_mul_lo_u16 v6, v132, 17
	v_sub_nc_u16 v5, v50, v7
	v_mul_lo_u16 v3, v131, 17
	v_and_b32_e32 v134, 0xff, v4
	v_mul_lo_u16 v4, v133, 17
	s_wait_kmcnt 0x0
	s_barrier_signal -1
	v_and_b32_e32 v135, 0xff, v5
	v_sub_nc_u16 v3, v51, v3
	v_sub_nc_u16 v5, v52, v6
	v_lshlrev_b32_e32 v6, 5, v134
	v_sub_nc_u16 v10, v2, v4
	v_lshlrev_b32_e32 v14, 5, v135
	v_and_b32_e32 v136, 0xff, v3
	s_barrier_wait -1
	global_inv scope:SCOPE_SE
	v_and_b32_e32 v137, 0xffff, v5
	s_clause 0x1
	global_load_b128 v[2:5], v6, s[8:9] offset:16
	global_load_b128 v[6:9], v6, s[8:9]
	v_and_b32_e32 v138, 0xffff, v10
	s_clause 0x1
	global_load_b128 v[10:13], v14, s[8:9] offset:16
	global_load_b128 v[14:17], v14, s[8:9]
	v_lshlrev_b32_e32 v22, 5, v136
	v_lshlrev_b32_e32 v30, 5, v137
	v_cmp_gt_u32_e64 s0, 51, v100
	v_lshlrev_b32_e32 v38, 5, v138
	s_clause 0x5
	global_load_b128 v[18:21], v22, s[8:9]
	global_load_b128 v[22:25], v22, s[8:9] offset:16
	global_load_b128 v[26:29], v30, s[8:9]
	global_load_b128 v[30:33], v30, s[8:9] offset:16
	;; [unrolled: 2-line block ×3, first 2 shown]
	ds_load_2addr_b64 v[42:45], v104 offset0:169 offset1:254
	ds_load_2addr_b64 v[46:49], v105 offset0:125 offset1:210
	;; [unrolled: 1-line block ×5, first 2 shown]
	s_mov_b32 s4, 0xe8584caa
	s_mov_b32 s5, 0x3febb67a
	;; [unrolled: 1-line block ×3, first 2 shown]
	s_wait_alu 0xfffe
	s_mov_b32 s10, s4
	s_mov_b32 s12, 0x134454ff
	s_mov_b32 s13, 0x3fee6f0e
	s_mov_b32 s1, 0xbfee6f0e
	s_mov_b32 s15, 0xbfe2cf23
	s_wait_loadcnt_dscnt 0x903
	v_mul_f64_e32 v[110:111], v[48:49], v[4:5]
	s_wait_loadcnt 0x8
	v_mul_f64_e32 v[65:66], v[42:43], v[8:9]
	s_wait_loadcnt_dscnt 0x702
	v_mul_f64_e32 v[114:115], v[53:54], v[12:13]
	s_wait_loadcnt 0x6
	v_mul_f64_e32 v[112:113], v[44:45], v[16:17]
	v_mul_f64_e32 v[8:9], v[92:93], v[8:9]
	;; [unrolled: 1-line block ×5, first 2 shown]
	s_wait_loadcnt_dscnt 0x501
	v_mul_f64_e32 v[116:117], v[57:58], v[20:21]
	s_wait_loadcnt 0x4
	v_mul_f64_e32 v[118:119], v[55:56], v[24:25]
	v_mul_f64_e32 v[20:21], v[84:85], v[20:21]
	;; [unrolled: 1-line block ×3, first 2 shown]
	s_wait_loadcnt 0x3
	v_mul_f64_e32 v[120:121], v[59:60], v[28:29]
	s_wait_loadcnt_dscnt 0x200
	v_mul_f64_e32 v[122:123], v[61:62], v[32:33]
	v_mul_f64_e32 v[28:29], v[86:87], v[28:29]
	;; [unrolled: 1-line block ×3, first 2 shown]
	s_wait_loadcnt 0x1
	v_mul_f64_e32 v[124:125], v[46:47], v[36:37]
	s_wait_loadcnt 0x0
	v_mul_f64_e32 v[126:127], v[63:64], v[40:41]
	v_mul_f64_e32 v[36:37], v[76:77], v[36:37]
	;; [unrolled: 1-line block ×3, first 2 shown]
	v_fma_f64 v[65:66], v[92:93], v[6:7], -v[65:66]
	v_fma_f64 v[92:93], v[78:79], v[2:3], -v[110:111]
	;; [unrolled: 1-line block ×4, first 2 shown]
	v_fma_f64 v[42:43], v[42:43], v[6:7], v[8:9]
	v_fma_f64 v[48:49], v[48:49], v[2:3], v[4:5]
	;; [unrolled: 1-line block ×4, first 2 shown]
	v_fma_f64 v[84:85], v[84:85], v[18:19], -v[116:117]
	v_fma_f64 v[90:91], v[90:91], v[22:23], -v[118:119]
	v_fma_f64 v[11:12], v[57:58], v[18:19], v[20:21]
	v_fma_f64 v[16:17], v[55:56], v[22:23], v[24:25]
	v_fma_f64 v[86:87], v[86:87], v[26:27], -v[120:121]
	v_fma_f64 v[80:81], v[80:81], v[30:31], -v[122:123]
	v_fma_f64 v[18:19], v[59:60], v[26:27], v[28:29]
	v_mov_b32_e32 v29, 0
	v_fma_f64 v[20:21], v[61:62], v[30:31], v[32:33]
	v_fma_f64 v[110:111], v[76:77], v[34:35], -v[124:125]
	v_fma_f64 v[82:83], v[82:83], v[38:39], -v[126:127]
	v_fma_f64 v[22:23], v[46:47], v[34:35], v[36:37]
	v_fma_f64 v[24:25], v[63:64], v[38:39], v[40:41]
	v_subrev_nc_u32_e32 v2, 51, v100
	ds_load_b64 v[112:113], v102
	ds_load_2addr_b64 v[76:79], v103 offset0:85 offset1:170
	v_mul_lo_u16 v3, 0xa1, v67
	ds_load_2addr_b64 v[5:8], v109 offset0:127 offset1:212
	v_mul_lo_u16 v13, 0xa1, v128
	v_cndmask_b32_e64 v2, v2, v100, s0
	v_and_b32_e32 v40, 0xffff, v129
	v_lshrrev_b16 v4, 13, v3
	v_and_b32_e32 v126, 0xffff, v131
	v_lshrrev_b16 v3, 13, v13
	v_lshlrev_b32_e32 v28, 2, v2
	v_mad_u32_u24 v13, 0x198, v40, 0
	v_mul_lo_u16 v129, v4, 51
	v_mad_u32_u24 v126, 0x198, v126, 0
	v_mad_u32_u24 v127, 0x198, v132, 0
	v_lshlrev_b64_e32 v[38:39], 4, v[28:29]
	v_and_b32_e32 v28, 0xffff, v130
	v_add_f64_e32 v[40:41], v[0:1], v[65:66]
	v_add_f64_e32 v[26:27], v[65:66], v[92:93]
	;; [unrolled: 1-line block ×4, first 2 shown]
	v_add_co_u32 v67, s0, s8, v38
	v_add_f64_e32 v[46:47], v[42:43], v[48:49]
	v_add_f64_e32 v[55:56], v[14:15], v[9:10]
	v_lshlrev_b32_e32 v38, 3, v134
	v_add_f64_e32 v[32:33], v[84:85], v[90:91]
	v_add_f64_e64 v[44:45], v[42:43], -v[48:49]
	v_add_f64_e32 v[59:60], v[11:12], v[16:17]
	v_add_f64_e32 v[61:62], v[70:71], v[84:85]
	;; [unrolled: 1-line block ×3, first 2 shown]
	v_add_f64_e64 v[57:58], v[14:15], -v[9:10]
	v_add_f64_e64 v[114:115], v[11:12], -v[16:17]
	v_add_f64_e32 v[63:64], v[18:19], v[20:21]
	v_add_f64_e32 v[122:123], v[74:75], v[110:111]
	;; [unrolled: 1-line block ×3, first 2 shown]
	s_wait_dscnt 0x1
	v_add_f64_e32 v[11:12], v[78:79], v[11:12]
	v_add_f64_e32 v[116:117], v[22:23], v[24:25]
	;; [unrolled: 1-line block ×3, first 2 shown]
	v_add_f64_e64 v[120:121], v[18:19], -v[20:21]
	s_wait_dscnt 0x0
	v_add_f64_e32 v[18:19], v[5:6], v[18:19]
	v_add_f64_e64 v[124:125], v[22:23], -v[24:25]
	v_add_f64_e32 v[22:23], v[7:8], v[22:23]
	v_mul_lo_u16 v130, v3, 51
	v_mad_u32_u24 v28, 0x198, v28, 0
	v_mad_u32_u24 v128, 0x198, v133, 0
	global_wb scope:SCOPE_SE
	s_barrier_signal -1
	s_barrier_wait -1
	global_inv scope:SCOPE_SE
	v_lshlrev_b32_e32 v2, 3, v2
	v_add_f64_e32 v[40:41], v[40:41], v[92:93]
	v_fma_f64 v[26:27], v[26:27], -0.5, v[0:1]
	v_sub_nc_u16 v0, v50, v129
	v_fma_f64 v[30:31], v[30:31], -0.5, v[68:69]
	s_wait_alu 0xf1ff
	v_add_co_ci_u32_e64 v68, s0, s9, v39, s0
	v_add3_u32 v129, v13, v38, v101
	v_add_f64_e32 v[38:39], v[112:113], v[42:43]
	v_add_f64_e64 v[42:43], v[65:66], -v[92:93]
	v_fma_f64 v[46:47], v[46:47], -0.5, v[112:113]
	v_add_f64_e32 v[13:14], v[76:77], v[14:15]
	v_add_f64_e64 v[65:66], v[94:95], -v[88:89]
	v_fma_f64 v[55:56], v[55:56], -0.5, v[76:77]
	v_fma_f64 v[32:33], v[32:33], -0.5, v[70:71]
	v_add_f64_e64 v[69:70], v[84:85], -v[90:91]
	v_fma_f64 v[59:60], v[59:60], -0.5, v[78:79]
	v_fma_f64 v[34:35], v[34:35], -0.5, v[72:73]
	;; [unrolled: 3-line block ×3, first 2 shown]
	v_add_f64_e64 v[73:74], v[110:111], -v[82:83]
	v_fma_f64 v[7:8], v[116:117], -0.5, v[7:8]
	v_add_f64_e32 v[75:76], v[122:123], v[82:83]
	v_lshlrev_b32_e32 v83, 3, v136
	v_add_f64_e32 v[53:54], v[53:54], v[88:89]
	v_add_f64_e32 v[61:62], v[61:62], v[90:91]
	;; [unrolled: 1-line block ×4, first 2 shown]
	v_add3_u32 v111, v126, v83, v101
	v_add_f64_e32 v[83:84], v[11:12], v[16:17]
	v_add_f64_e32 v[87:88], v[22:23], v[24:25]
	v_lshlrev_b32_e32 v15, 3, v135
	v_lshlrev_b32_e32 v93, 3, v137
	;; [unrolled: 1-line block ×3, first 2 shown]
	v_sub_nc_u16 v1, v51, v130
	v_and_b32_e32 v0, 0xff, v0
	v_add3_u32 v110, v28, v15, v101
	v_add3_u32 v112, v127, v93, v101
	;; [unrolled: 1-line block ×3, first 2 shown]
	v_fma_f64 v[77:78], v[44:45], s[4:5], v[26:27]
	s_wait_alu 0xfffe
	v_fma_f64 v[26:27], v[44:45], s[10:11], v[26:27]
	v_fma_f64 v[44:45], v[57:58], s[4:5], v[30:31]
	;; [unrolled: 1-line block ×3, first 2 shown]
	v_and_b32_e32 v1, 0xff, v1
	v_lshlrev_b32_e32 v95, 6, v0
	v_add_f64_e32 v[38:39], v[38:39], v[48:49]
	v_cmp_lt_u32_e64 s0, 50, v100
	v_fma_f64 v[89:90], v[42:43], s[10:11], v[46:47]
	v_fma_f64 v[42:43], v[42:43], s[4:5], v[46:47]
	v_add_f64_e32 v[48:49], v[13:14], v[9:10]
	v_fma_f64 v[46:47], v[65:66], s[10:11], v[55:56]
	v_fma_f64 v[55:56], v[65:66], s[4:5], v[55:56]
	;; [unrolled: 1-line block ×14, first 2 shown]
	s_mov_b32 s10, 0x4755a5e
	s_mov_b32 s11, 0x3fe2cf23
	s_wait_alu 0xfffe
	s_mov_b32 s14, s10
	s_mov_b32 s4, 0x372fe950
	;; [unrolled: 1-line block ×3, first 2 shown]
	v_lshlrev_b32_e32 v0, 3, v0
	ds_store_2addr_b64 v129, v[40:41], v[77:78] offset1:17
	ds_store_b64 v129, v[26:27] offset:272
	ds_store_2addr_b64 v110, v[53:54], v[44:45] offset1:17
	ds_store_b64 v110, v[30:31] offset:272
	;; [unrolled: 2-line block ×5, first 2 shown]
	global_wb scope:SCOPE_SE
	s_wait_dscnt 0x0
	s_barrier_signal -1
	s_barrier_wait -1
	global_inv scope:SCOPE_SE
	ds_load_b64 v[93:94], v102
	ds_load_2addr_b64 v[5:8], v109 offset0:127 offset1:212
	ds_load_2addr_b64 v[9:12], v104 offset0:169 offset1:254
	;; [unrolled: 1-line block ×7, first 2 shown]
	global_wb scope:SCOPE_SE
	s_wait_dscnt 0x0
	s_barrier_signal -1
	s_barrier_wait -1
	global_inv scope:SCOPE_SE
	ds_store_2addr_b64 v129, v[38:39], v[89:90] offset1:17
	ds_store_b64 v129, v[42:43] offset:272
	ds_store_2addr_b64 v110, v[48:49], v[46:47] offset1:17
	ds_store_b64 v110, v[55:56] offset:272
	;; [unrolled: 2-line block ×5, first 2 shown]
	global_wb scope:SCOPE_SE
	s_wait_dscnt 0x0
	s_barrier_signal -1
	s_barrier_wait -1
	global_inv scope:SCOPE_SE
	s_clause 0x3
	global_load_b128 v[34:37], v[67:68], off offset:560
	global_load_b128 v[38:41], v[67:68], off offset:544
	;; [unrolled: 1-line block ×4, first 2 shown]
	v_lshlrev_b32_e32 v81, 6, v1
	s_clause 0x7
	global_load_b128 v[53:56], v95, s[8:9] offset:544
	global_load_b128 v[57:60], v95, s[8:9] offset:560
	;; [unrolled: 1-line block ×8, first 2 shown]
	ds_load_2addr_b64 v[85:88], v109 offset0:127 offset1:212
	ds_load_2addr_b64 v[89:92], v104 offset0:169 offset1:254
	;; [unrolled: 1-line block ×6, first 2 shown]
	v_lshlrev_b32_e32 v1, 3, v1
	s_wait_loadcnt_dscnt 0x705
	v_mul_f64_e32 v[134:135], v[87:88], v[55:56]
	s_wait_loadcnt_dscnt 0x601
	v_mul_f64_e32 v[136:137], v[118:119], v[59:60]
	v_mul_f64_e32 v[128:129], v[91:92], v[36:37]
	;; [unrolled: 1-line block ×5, first 2 shown]
	s_wait_loadcnt 0x5
	v_mul_f64_e32 v[138:139], v[112:113], v[63:64]
	s_wait_loadcnt_dscnt 0x400
	v_mul_f64_e32 v[140:141], v[122:123], v[67:68]
	s_wait_loadcnt 0x2
	v_mul_f64_e32 v[144:145], v[120:121], v[75:76]
	s_wait_loadcnt 0x1
	v_mul_f64_e32 v[146:147], v[114:115], v[79:80]
	v_mul_f64_e32 v[142:143], v[89:90], v[71:72]
	s_wait_loadcnt 0x0
	v_mul_f64_e32 v[148:149], v[124:125], v[83:84]
	v_mul_f64_e32 v[40:41], v[5:6], v[40:41]
	;; [unrolled: 1-line block ×13, first 2 shown]
	v_fma_f64 v[25:26], v[25:26], v[57:58], -v[136:137]
	v_fma_f64 v[11:12], v[11:12], v[34:35], -v[128:129]
	;; [unrolled: 1-line block ×12, first 2 shown]
	v_fma_f64 v[38:39], v[85:86], v[38:39], v[40:41]
	v_fma_f64 v[34:35], v[91:92], v[34:35], v[36:37]
	;; [unrolled: 1-line block ×12, first 2 shown]
	v_cndmask_b32_e64 v5, 0, 0x7f8, s0
	ds_load_b64 v[63:64], v102
	s_mov_b32 s0, s12
	v_add_nc_u32_e32 v95, 0, v5
	ds_load_2addr_b64 v[5:8], v103 offset0:85 offset1:170
	global_wb scope:SCOPE_SE
	s_wait_dscnt 0x0
	s_barrier_signal -1
	s_barrier_wait -1
	global_inv scope:SCOPE_SE
	v_add_f64_e32 v[75:76], v[93:94], v[126:127]
	v_add_f64_e32 v[65:66], v[126:127], v[19:20]
	;; [unrolled: 1-line block ×6, first 2 shown]
	v_add_f64_e64 v[81:82], v[126:127], -v[11:12]
	v_add_f64_e32 v[71:72], v[27:28], v[17:18]
	v_add_f64_e64 v[85:86], v[11:12], -v[126:127]
	v_add_f64_e32 v[73:74], v[9:10], v[32:33]
	;; [unrolled: 2-line block ×3, first 2 shown]
	v_add_f64_e32 v[91:92], v[34:35], v[40:41]
	v_add_f64_e32 v[114:115], v[38:39], v[36:37]
	v_add_f64_e64 v[77:78], v[38:39], -v[36:37]
	v_add_f64_e32 v[120:121], v[42:43], v[44:45]
	v_add_f64_e64 v[79:80], v[34:35], -v[40:41]
	;; [unrolled: 2-line block ×6, first 2 shown]
	v_add_f64_e32 v[146:147], v[5:6], v[46:47]
	v_add_f64_e32 v[162:163], v[7:8], v[53:54]
	v_add_f64_e64 v[142:143], v[25:26], -v[128:129]
	v_add_f64_e64 v[148:149], v[25:26], -v[15:16]
	;; [unrolled: 1-line block ×11, first 2 shown]
	v_add_f64_e32 v[11:12], v[75:76], v[11:12]
	v_fma_f64 v[65:66], v[65:66], -0.5, v[93:94]
	v_fma_f64 v[61:62], v[61:62], -0.5, v[93:94]
	;; [unrolled: 1-line block ×3, first 2 shown]
	v_add_f64_e64 v[93:94], v[128:129], -v[25:26]
	v_fma_f64 v[21:22], v[69:70], -0.5, v[21:22]
	v_add_f64_e64 v[69:70], v[55:56], -v[57:58]
	v_fma_f64 v[71:72], v[71:72], -0.5, v[23:24]
	;; [unrolled: 2-line block ×3, first 2 shown]
	v_add_f64_e64 v[73:74], v[30:31], -v[15:16]
	v_add_f64_e32 v[25:26], v[118:119], v[25:26]
	v_fma_f64 v[75:76], v[91:92], -0.5, v[63:64]
	v_fma_f64 v[63:64], v[114:115], -0.5, v[63:64]
	v_add_f64_e64 v[118:119], v[27:28], -v[17:18]
	v_fma_f64 v[114:115], v[120:121], -0.5, v[5:6]
	v_add_f64_e32 v[27:28], v[126:127], v[27:28]
	v_fma_f64 v[5:6], v[124:125], -0.5, v[5:6]
	v_add_f64_e64 v[122:123], v[36:37], -v[40:41]
	v_fma_f64 v[120:121], v[130:131], -0.5, v[7:8]
	v_add_f64_e64 v[38:39], v[34:35], -v[38:39]
	;; [unrolled: 2-line block ×3, first 2 shown]
	v_add_f64_e64 v[46:47], v[42:43], -v[46:47]
	v_add_f64_e64 v[124:125], v[53:54], -v[55:56]
	;; [unrolled: 1-line block ×3, first 2 shown]
	v_add_f64_e32 v[34:35], v[89:90], v[34:35]
	v_add_f64_e32 v[42:43], v[146:147], v[42:43]
	;; [unrolled: 1-line block ×3, first 2 shown]
	v_add_f64_e64 v[132:133], v[40:41], -v[36:37]
	v_add_f64_e64 v[152:153], v[48:49], -v[44:45]
	;; [unrolled: 1-line block ×3, first 2 shown]
	v_add_f64_e32 v[81:82], v[81:82], v[83:84]
	v_add_f64_e32 v[83:84], v[85:86], v[87:88]
	;; [unrolled: 1-line block ×3, first 2 shown]
	v_add_f64_e64 v[126:127], v[59:60], -v[57:58]
	v_add_f64_e64 v[172:173], v[57:58], -v[59:60]
	v_add_f64_e32 v[87:88], v[154:155], v[156:157]
	v_add_f64_e32 v[11:12], v[11:12], v[13:14]
	s_wait_alu 0xfffe
	v_fma_f64 v[134:135], v[79:80], s[0:1], v[65:66]
	v_fma_f64 v[130:131], v[77:78], s[12:13], v[61:62]
	;; [unrolled: 1-line block ×13, first 2 shown]
	v_add_f64_e32 v[73:74], v[93:94], v[73:74]
	v_fma_f64 v[93:94], v[112:113], s[12:13], v[63:64]
	v_fma_f64 v[63:64], v[112:113], s[0:1], v[63:64]
	;; [unrolled: 1-line block ×3, first 2 shown]
	v_add_f64_e32 v[15:16], v[25:26], v[15:16]
	v_fma_f64 v[25:26], v[128:129], s[0:1], v[114:115]
	v_fma_f64 v[142:143], v[148:149], s[12:13], v[5:6]
	;; [unrolled: 1-line block ×4, first 2 shown]
	v_add_f64_e32 v[17:18], v[27:28], v[17:18]
	v_fma_f64 v[27:28], v[9:10], s[0:1], v[120:121]
	v_fma_f64 v[144:145], v[118:119], s[12:13], v[7:8]
	v_fma_f64 v[7:8], v[118:119], s[0:1], v[7:8]
	v_fma_f64 v[120:121], v[9:10], s[12:13], v[120:121]
	v_add_f64_e32 v[89:90], v[158:159], v[160:161]
	v_add_f64_e32 v[34:35], v[34:35], v[40:41]
	;; [unrolled: 1-line block ×9, first 2 shown]
	v_fma_f64 v[130:131], v[79:80], s[10:11], v[130:131]
	v_fma_f64 v[61:62], v[79:80], s[14:15], v[61:62]
	v_fma_f64 v[79:80], v[77:78], s[10:11], v[134:135]
	v_fma_f64 v[65:66], v[77:78], s[14:15], v[65:66]
	v_fma_f64 v[77:78], v[138:139], s[10:11], v[164:165]
	v_fma_f64 v[67:68], v[138:139], s[14:15], v[67:68]
	v_fma_f64 v[134:135], v[136:137], s[10:11], v[166:167]
	v_fma_f64 v[21:22], v[136:137], s[14:15], v[21:22]
	v_fma_f64 v[136:137], v[69:70], s[10:11], v[168:169]
	v_fma_f64 v[138:139], v[140:141], s[10:11], v[170:171]
	v_fma_f64 v[23:24], v[140:141], s[14:15], v[23:24]
	v_fma_f64 v[69:70], v[69:70], s[14:15], v[71:72]
	v_and_b32_e32 v140, 0xffff, v4
	v_and_b32_e32 v141, 0xffff, v3
	v_add_f64_e32 v[3:4], v[116:117], v[122:123]
	v_fma_f64 v[13:14], v[112:113], s[14:15], v[13:14]
	v_fma_f64 v[44:45], v[110:111], s[14:15], v[93:94]
	;; [unrolled: 1-line block ×4, first 2 shown]
	v_add_f64_e32 v[71:72], v[150:151], v[152:153]
	v_fma_f64 v[25:26], v[148:149], s[14:15], v[25:26]
	v_fma_f64 v[57:58], v[128:129], s[14:15], v[142:143]
	;; [unrolled: 1-line block ×3, first 2 shown]
	v_add_f64_e32 v[15:16], v[15:16], v[30:31]
	v_fma_f64 v[30:31], v[148:149], s[10:11], v[114:115]
	v_fma_f64 v[27:28], v[118:119], s[14:15], v[27:28]
	;; [unrolled: 1-line block ×4, first 2 shown]
	v_add_f64_e32 v[17:18], v[17:18], v[32:33]
	v_fma_f64 v[32:33], v[118:119], s[10:11], v[120:121]
	v_add_f64_e32 v[34:35], v[34:35], v[36:37]
	v_add_f64_e32 v[36:37], v[40:41], v[48:49]
	v_add_f64_e32 v[40:41], v[42:43], v[59:60]
	v_fma_f64 v[9:10], v[81:82], s[4:5], v[130:131]
	v_fma_f64 v[61:62], v[81:82], s[4:5], v[61:62]
	;; [unrolled: 1-line block ×12, first 2 shown]
	v_mad_u32_u24 v83, 0x7f8, v140, 0
	v_mad_u32_u24 v84, 0x7f8, v141, 0
	v_add3_u32 v85, v95, v2, v101
	v_fma_f64 v[42:43], v[3:4], s[4:5], v[13:14]
	v_fma_f64 v[44:45], v[38:39], s[4:5], v[44:45]
	;; [unrolled: 1-line block ×4, first 2 shown]
	v_add3_u32 v83, v83, v0, v101
	v_fma_f64 v[55:56], v[71:72], s[4:5], v[25:26]
	v_fma_f64 v[57:58], v[46:47], s[4:5], v[57:58]
	;; [unrolled: 1-line block ×3, first 2 shown]
	v_add3_u32 v84, v84, v1, v101
	v_fma_f64 v[30:31], v[71:72], s[4:5], v[30:31]
	v_fma_f64 v[71:72], v[91:92], s[4:5], v[27:28]
	;; [unrolled: 1-line block ×4, first 2 shown]
	ds_store_2addr_b64 v85, v[11:12], v[9:10] offset1:51
	ds_store_2addr_b64 v85, v[75:76], v[65:66] offset0:102 offset1:153
	ds_store_b64 v85, v[61:62] offset:1632
	ds_store_2addr_b64 v83, v[15:16], v[77:78] offset1:51
	ds_store_2addr_b64 v83, v[73:74], v[21:22] offset0:102 offset1:153
	ds_store_b64 v83, v[67:68] offset:1632
	;; [unrolled: 3-line block ×3, first 2 shown]
	v_fma_f64 v[32:33], v[91:92], s[4:5], v[32:33]
	global_wb scope:SCOPE_SE
	s_wait_dscnt 0x0
	s_barrier_signal -1
	s_barrier_wait -1
	global_inv scope:SCOPE_SE
	ds_load_b64 v[48:49], v102
	ds_load_2addr_b64 v[4:7], v109 offset0:127 offset1:212
	ds_load_2addr_b64 v[20:23], v104 offset0:169 offset1:254
	;; [unrolled: 1-line block ×7, first 2 shown]
	global_wb scope:SCOPE_SE
	s_wait_dscnt 0x0
	s_barrier_signal -1
	s_barrier_wait -1
	global_inv scope:SCOPE_SE
	ds_store_2addr_b64 v85, v[34:35], v[42:43] offset1:51
	ds_store_2addr_b64 v85, v[44:45], v[38:39] offset0:102 offset1:153
	ds_store_b64 v85, v[59:60] offset:1632
	ds_store_2addr_b64 v83, v[36:37], v[55:56] offset1:51
	ds_store_2addr_b64 v83, v[57:58], v[46:47] offset0:102 offset1:153
	ds_store_b64 v83, v[30:31] offset:1632
	;; [unrolled: 3-line block ×3, first 2 shown]
	global_wb scope:SCOPE_SE
	s_wait_dscnt 0x0
	s_barrier_signal -1
	s_barrier_wait -1
	global_inv scope:SCOPE_SE
	s_and_saveexec_b32 s18, vcc_lo
	s_cbranch_execz .LBB0_16
; %bb.15:
	v_mad_co_u64_u32 v[115:116], null, s16, v100, 0
	v_lshlrev_b32_e32 v28, 2, v51
	v_lshlrev_b64_e32 v[117:118], 4, v[96:97]
	v_mad_co_u64_u32 v[119:120], null, s16, v52, 0
	v_mul_hi_u32 v132, 0x80808081, v50
	v_mul_hi_u32 v133, 0x80808081, v51
	v_mov_b32_e32 v97, v116
	v_lshlrev_b64_e32 v[30:31], 4, v[28:29]
	v_add_nc_u32_e32 v85, 0x1000, v103
	v_lshlrev_b32_e32 v28, 2, v50
	v_mov_b32_e32 v116, v120
	v_mul_lo_u32 v127, s3, v98
	v_lshrrev_b32_e32 v120, 7, v132
	v_add_co_u32 v30, vcc_lo, s8, v30
	s_wait_alu 0xfffd
	v_add_co_ci_u32_e32 v31, vcc_lo, s9, v31, vcc_lo
	v_lshrrev_b32_e32 v132, 7, v133
	v_lshlrev_b64_e32 v[32:33], 4, v[28:29]
	s_clause 0x3
	global_load_b128 v[53:56], v[30:31], off offset:3856
	global_load_b128 v[57:60], v[30:31], off offset:3840
	global_load_b128 v[61:64], v[30:31], off offset:3824
	global_load_b128 v[65:68], v[30:31], off offset:3808
	v_mul_lo_u32 v128, s2, v99
	v_mad_u32_u24 v146, 0x3fc, v132, v51
	v_mad_co_u64_u32 v[98:99], null, s2, v98, 0
	v_add_co_u32 v30, vcc_lo, s8, v32
	s_delay_alu instid0(VALU_DEP_3)
	v_add_nc_u32_e32 v151, 0xff, v146
	s_wait_alu 0xfffd
	v_add_co_ci_u32_e32 v31, vcc_lo, s9, v33, vcc_lo
	v_add_nc_u32_e32 v129, 0x1fe, v100
	v_add_nc_u32_e32 v131, 0x3fc, v100
	v_mad_co_u64_u32 v[137:138], null, s16, v151, 0
	v_lshlrev_b32_e32 v28, 2, v100
	v_add_nc_u32_e32 v152, 0x1fe, v146
	v_mad_co_u64_u32 v[121:122], null, s16, v129, 0
	v_mad_co_u64_u32 v[125:126], null, s16, v131, 0
	s_delay_alu instid0(VALU_DEP_4)
	v_lshlrev_b64_e32 v[28:29], 4, v[28:29]
	v_add3_u32 v99, v99, v128, v127
	v_mad_co_u64_u32 v[139:140], null, s16, v152, 0
	v_add_nc_u32_e32 v130, 0x2fd, v100
	v_mad_co_u64_u32 v[127:128], null, s17, v100, v[97:98]
	v_add_co_u32 v28, vcc_lo, s8, v28
	s_wait_alu 0xfffd
	v_add_co_ci_u32_e32 v29, vcc_lo, s9, v29, vcc_lo
	s_clause 0x7
	global_load_b128 v[32:35], v[30:31], off offset:3824
	global_load_b128 v[44:47], v[30:31], off offset:3808
	global_load_b128 v[40:43], v[30:31], off offset:3840
	global_load_b128 v[36:39], v[30:31], off offset:3856
	global_load_b128 v[69:72], v[28:29], off offset:3824
	global_load_b128 v[73:76], v[28:29], off offset:3808
	global_load_b128 v[77:80], v[28:29], off offset:3856
	global_load_b128 v[81:84], v[28:29], off offset:3840
	v_mad_co_u64_u32 v[123:124], null, s16, v130, 0
	v_lshlrev_b64_e32 v[97:98], 4, v[98:99]
	v_mad_co_u64_u32 v[99:100], null, s17, v52, v[116:117]
	v_dual_mov_b32 v52, v122 :: v_dual_add_nc_u32 v89, 0x800, v103
	v_dual_mov_b32 v116, v126 :: v_dual_add_nc_u32 v101, 0x2000, v103
	;; [unrolled: 1-line block ×3, first 2 shown]
	v_add_nc_u32_e32 v105, 0x400, v103
	v_add_nc_u32_e32 v109, 0x1400, v103
	ds_load_2addr_b64 v[28:31], v103 offset0:85 offset1:170
	ds_load_b64 v[113:114], v102
	v_mad_u32_u24 v145, 0x3fc, v120, v50
	v_mov_b32_e32 v120, v99
	v_add_nc_u32_e32 v154, 0x3fc, v146
	s_delay_alu instid0(VALU_DEP_3) | instskip(SKIP_1) | instid1(VALU_DEP_3)
	v_add_nc_u32_e32 v148, 0x1fe, v145
	v_add_nc_u32_e32 v150, 0x3fc, v145
	v_mad_co_u64_u32 v[143:144], null, s16, v154, 0
	s_delay_alu instid0(VALU_DEP_2)
	v_mad_co_u64_u32 v[135:136], null, s16, v150, 0
	s_wait_loadcnt 0xb
	v_mad_co_u64_u32 v[50:51], null, s17, v129, v[52:53]
	v_mad_co_u64_u32 v[128:129], null, s17, v131, v[116:117]
	v_mov_b32_e32 v116, v127
	ds_load_2addr_b64 v[85:88], v85 offset0:83 offset1:168
	ds_load_2addr_b64 v[89:92], v89 offset0:169 offset1:254
	;; [unrolled: 1-line block ×6, first 2 shown]
	v_mad_co_u64_u32 v[131:132], null, s16, v146, 0
	v_add_nc_u32_e32 v147, 0xff, v145
	v_mul_f64_e32 v[155:156], v[14:15], v[55:56]
	v_mov_b32_e32 v126, v128
	v_lshlrev_b64_e32 v[115:116], 4, v[115:116]
	s_wait_dscnt 0x2
	v_mad_co_u64_u32 v[51:52], null, s17, v130, v[100:101]
	v_mad_co_u64_u32 v[129:130], null, s16, v145, 0
	v_add_co_u32 v52, vcc_lo, s6, v97
	v_mad_co_u64_u32 v[99:100], null, s16, v148, 0
	v_add_nc_u32_e32 v149, 0x2fd, v145
	s_wait_alu 0xfffd
	v_add_co_ci_u32_e32 v122, vcc_lo, s7, v98, vcc_lo
	v_add_nc_u32_e32 v153, 0x2fd, v146
	v_mad_co_u64_u32 v[97:98], null, s16, v147, 0
	v_add_co_u32 v179, vcc_lo, v52, v117
	v_mov_b32_e32 v52, v100
	s_wait_alu 0xfffd
	v_add_co_ci_u32_e32 v180, vcc_lo, v122, v118, vcc_lo
	v_mov_b32_e32 v122, v50
	v_mov_b32_e32 v124, v51
	;; [unrolled: 1-line block ×3, first 2 shown]
	v_mad_co_u64_u32 v[133:134], null, s16, v149, 0
	v_mov_b32_e32 v51, v132
	v_mad_co_u64_u32 v[141:142], null, s16, v153, 0
	v_lshlrev_b64_e32 v[117:118], 4, v[119:120]
	v_lshlrev_b64_e32 v[119:120], 4, v[121:122]
	;; [unrolled: 1-line block ×4, first 2 shown]
	v_mad_co_u64_u32 v[125:126], null, s17, v145, v[50:51]
	v_mov_b32_e32 v50, v98
	v_mad_co_u64_u32 v[126:127], null, s17, v146, v[51:52]
	v_dual_mov_b32 v51, v138 :: v_dual_mov_b32 v98, v134
	v_mov_b32_e32 v100, v136
	v_dual_mov_b32 v130, v144 :: v_dual_mov_b32 v127, v140
	v_mov_b32_e32 v128, v142
	s_delay_alu instid0(VALU_DEP_4)
	v_mad_co_u64_u32 v[144:145], null, s17, v147, v[50:51]
	v_mad_co_u64_u32 v[145:146], null, s17, v148, v[52:53]
	;; [unrolled: 1-line block ×8, first 2 shown]
	s_wait_loadcnt 0x9
	v_mul_f64_e32 v[149:150], v[18:19], v[63:64]
	s_wait_loadcnt 0x8
	v_mul_f64_e32 v[151:152], v[20:21], v[67:68]
	v_mul_f64_e32 v[153:154], v[24:25], v[59:60]
	;; [unrolled: 1-line block ×6, first 2 shown]
	s_wait_loadcnt 0x7
	v_mul_f64_e32 v[157:158], v[16:17], v[34:35]
	s_wait_loadcnt 0x6
	v_mul_f64_e32 v[159:160], v[6:7], v[46:47]
	;; [unrolled: 2-line block ×8, first 2 shown]
	v_mul_f64_e32 v[71:72], v[91:92], v[71:72]
	s_wait_dscnt 0x0
	v_mul_f64_e32 v[83:84], v[109:110], v[83:84]
	v_mul_f64_e32 v[75:76], v[105:106], v[75:76]
	;; [unrolled: 1-line block ×7, first 2 shown]
	v_fma_f64 v[103:104], v[103:104], v[53:54], v[155:156]
	v_add_co_u32 v115, vcc_lo, v179, v115
	s_wait_alu 0xfffd
	v_add_co_ci_u32_e32 v116, vcc_lo, v180, v116, vcc_lo
	v_add_co_u32 v117, vcc_lo, v179, v117
	v_mov_b32_e32 v130, v125
	s_wait_alu 0xfffd
	v_add_co_ci_u32_e32 v118, vcc_lo, v180, v118, vcc_lo
	v_add_co_u32 v119, vcc_lo, v179, v119
	v_mov_b32_e32 v100, v145
	s_wait_alu 0xfffd
	v_add_co_ci_u32_e32 v120, vcc_lo, v180, v120, vcc_lo
	v_fma_f64 v[87:88], v[87:88], v[61:62], v[149:150]
	v_fma_f64 v[89:90], v[89:90], v[65:66], v[151:152]
	;; [unrolled: 1-line block ×3, first 2 shown]
	v_fma_f64 v[20:21], v[20:21], v[65:66], -v[67:68]
	v_fma_f64 v[14:15], v[14:15], v[53:54], -v[55:56]
	;; [unrolled: 1-line block ×4, first 2 shown]
	v_fma_f64 v[52:53], v[85:86], v[32:33], v[157:158]
	v_fma_f64 v[54:55], v[107:108], v[44:45], v[159:160]
	;; [unrolled: 1-line block ×8, first 2 shown]
	v_fma_f64 v[22:23], v[22:23], v[69:70], -v[71:72]
	v_fma_f64 v[8:9], v[8:9], v[81:82], -v[83:84]
	;; [unrolled: 1-line block ×8, first 2 shown]
	v_add_co_u32 v121, vcc_lo, v179, v121
	v_mov_b32_e32 v132, v126
	v_lshlrev_b64_e32 v[125:126], 4, v[129:130]
	s_wait_alu 0xfffd
	v_add_co_ci_u32_e32 v122, vcc_lo, v180, v122, vcc_lo
	v_mov_b32_e32 v138, v50
	v_mov_b32_e32 v140, v51
	v_lshlrev_b64_e32 v[34:35], 4, v[99:100]
	v_add_co_u32 v123, vcc_lo, v179, v123
	s_wait_alu 0xfffd
	v_add_co_ci_u32_e32 v124, vcc_lo, v180, v124, vcc_lo
	v_add_co_u32 v82, vcc_lo, v179, v125
	v_mov_b32_e32 v134, v146
	v_add_f64_e32 v[36:37], v[89:90], v[103:104]
	v_add_f64_e32 v[40:41], v[87:88], v[93:94]
	s_wait_alu 0xfffd
	v_add_co_ci_u32_e32 v83, vcc_lo, v180, v126, vcc_lo
	v_lshlrev_b64_e32 v[68:69], 4, v[131:132]
	v_lshlrev_b64_e32 v[70:71], 4, v[133:134]
	v_add_f64_e32 v[131:132], v[20:21], v[14:15]
	v_add_f64_e32 v[133:134], v[18:19], v[24:25]
	;; [unrolled: 1-line block ×4, first 2 shown]
	v_mov_b32_e32 v136, v147
	v_mov_b32_e32 v98, v144
	v_add_f64_e32 v[84:85], v[62:63], v[64:65]
	v_add_f64_e32 v[95:96], v[60:61], v[66:67]
	v_mov_b32_e32 v144, v148
	v_add_f64_e32 v[99:100], v[22:23], v[8:9]
	v_lshlrev_b64_e32 v[72:73], 4, v[135:136]
	v_add_f64_e32 v[101:102], v[4:5], v[26:27]
	v_add_f64_e64 v[46:47], v[20:21], -v[14:15]
	v_add_f64_e32 v[111:112], v[16:17], v[10:11]
	v_add_f64_e32 v[107:108], v[89:90], v[30:31]
	;; [unrolled: 1-line block ×3, first 2 shown]
	v_add_f64_e64 v[109:110], v[18:19], -v[20:21]
	v_add_f64_e64 v[135:136], v[20:21], -v[18:19]
	v_add_f64_e32 v[20:21], v[2:3], v[20:21]
	v_add_f64_e32 v[151:152], v[54:55], v[28:29]
	;; [unrolled: 1-line block ×5, first 2 shown]
	v_lshlrev_b64_e32 v[32:33], 4, v[97:98]
	v_lshlrev_b64_e32 v[74:75], 4, v[137:138]
	v_add_f64_e64 v[38:39], v[87:88], -v[89:90]
	v_add_f64_e64 v[42:43], v[93:94], -v[103:104]
	;; [unrolled: 1-line block ×7, first 2 shown]
	v_fma_f64 v[36:37], v[36:37], -0.5, v[30:31]
	v_fma_f64 v[30:31], v[40:41], -0.5, v[30:31]
	v_add_f64_e64 v[40:41], v[4:5], -v[26:27]
	v_mov_b32_e32 v142, v127
	v_lshlrev_b64_e32 v[80:81], 4, v[143:144]
	v_add_f64_e64 v[127:128], v[24:25], -v[14:15]
	v_add_f64_e64 v[143:144], v[6:7], -v[12:13]
	;; [unrolled: 1-line block ×3, first 2 shown]
	v_lshlrev_b64_e32 v[76:77], 4, v[139:140]
	v_fma_f64 v[44:45], v[44:45], -0.5, v[28:29]
	v_fma_f64 v[28:29], v[50:51], -0.5, v[28:29]
	v_add_f64_e64 v[139:140], v[52:53], -v[54:55]
	v_fma_f64 v[50:51], v[84:85], -0.5, v[113:114]
	v_fma_f64 v[95:96], v[95:96], -0.5, v[113:114]
	v_add_f64_e64 v[113:114], v[62:63], -v[64:65]
	v_fma_f64 v[99:100], v[99:100], -0.5, v[48:49]
	v_add_f64_e64 v[84:85], v[60:61], -v[66:67]
	;; [unrolled: 2-line block ×3, first 2 shown]
	v_add_f64_e64 v[54:55], v[54:55], -v[58:59]
	v_fma_f64 v[111:112], v[111:112], -0.5, v[0:1]
	v_add_f64_e64 v[163:164], v[52:53], -v[56:57]
	v_fma_f64 v[0:1], v[125:126], -0.5, v[0:1]
	v_add_f64_e64 v[89:90], v[89:90], -v[103:104]
	v_fma_f64 v[131:132], v[131:132], -0.5, v[2:3]
	v_fma_f64 v[2:3], v[133:134], -0.5, v[2:3]
	v_add_f64_e64 v[129:130], v[87:88], -v[93:94]
	v_lshlrev_b64_e32 v[78:79], 4, v[141:142]
	v_add_f64_e64 v[141:142], v[56:57], -v[58:59]
	v_add_f64_e64 v[149:150], v[58:59], -v[56:57]
	;; [unrolled: 1-line block ×7, first 2 shown]
	v_add_f64_e32 v[86:87], v[87:88], v[107:108]
	v_add_f64_e32 v[18:19], v[18:19], v[20:21]
	;; [unrolled: 1-line block ×6, first 2 shown]
	v_add_f64_e64 v[101:102], v[12:13], -v[10:11]
	v_add_f64_e64 v[125:126], v[60:61], -v[62:63]
	v_add_f64_e64 v[167:168], v[66:67], -v[64:65]
	v_add_f64_e64 v[62:63], v[62:63], -v[60:61]
	v_add_f64_e64 v[133:134], v[64:65], -v[66:67]
	v_add_f64_e32 v[38:39], v[38:39], v[42:43]
	v_add_f64_e32 v[42:43], v[97:98], v[105:106]
	;; [unrolled: 1-line block ×3, first 2 shown]
	v_fma_f64 v[60:61], v[91:92], s[0:1], v[36:37]
	v_fma_f64 v[36:37], v[91:92], s[12:13], v[36:37]
	;; [unrolled: 1-line block ×8, first 2 shown]
	v_add_f64_e64 v[171:172], v[8:9], -v[26:27]
	v_add_f64_e32 v[97:98], v[109:110], v[127:128]
	v_fma_f64 v[109:110], v[145:146], s[0:1], v[44:45]
	v_fma_f64 v[44:45], v[145:146], s[12:13], v[44:45]
	;; [unrolled: 1-line block ×9, first 2 shown]
	v_add_f64_e64 v[155:156], v[10:11], -v[12:13]
	v_fma_f64 v[161:162], v[163:164], s[0:1], v[0:1]
	v_fma_f64 v[0:1], v[163:164], s[12:13], v[0:1]
	;; [unrolled: 1-line block ×7, first 2 shown]
	v_add_f64_e32 v[139:140], v[139:140], v[141:142]
	v_add_f64_e32 v[141:142], v[147:148], v[149:150]
	;; [unrolled: 1-line block ×12, first 2 shown]
	v_fma_f64 v[20:21], v[46:47], s[10:11], v[60:61]
	v_fma_f64 v[22:23], v[46:47], s[14:15], v[36:37]
	;; [unrolled: 1-line block ×7, first 2 shown]
	v_add_f64_e32 v[133:134], v[169:170], v[171:172]
	v_add_co_u32 v68, vcc_lo, v179, v68
	v_fma_f64 v[44:45], v[143:144], s[14:15], v[44:45]
	v_fma_f64 v[46:47], v[145:146], s[10:11], v[127:128]
	;; [unrolled: 1-line block ×9, first 2 shown]
	v_add_f64_e32 v[147:148], v[153:154], v[155:156]
	v_fma_f64 v[91:92], v[54:55], s[10:11], v[161:162]
	v_fma_f64 v[36:37], v[143:144], s[10:11], v[109:110]
	;; [unrolled: 1-line block ×8, first 2 shown]
	s_wait_alu 0xfffd
	v_add_co_ci_u32_e32 v69, vcc_lo, v180, v69, vcc_lo
	v_add_co_u32 v111, vcc_lo, v179, v32
	s_wait_alu 0xfffd
	v_add_co_ci_u32_e32 v112, vcc_lo, v180, v33, vcc_lo
	v_add_co_u32 v113, vcc_lo, v179, v34
	v_add_f64_e32 v[2:3], v[103:104], v[4:5]
	v_add_f64_e32 v[4:5], v[10:11], v[12:13]
	;; [unrolled: 1-line block ×6, first 2 shown]
	v_fma_f64 v[18:19], v[38:39], s[4:5], v[22:23]
	v_fma_f64 v[22:23], v[42:43], s[4:5], v[24:25]
	;; [unrolled: 1-line block ×6, first 2 shown]
	s_wait_alu 0xfffd
	v_add_co_ci_u32_e32 v114, vcc_lo, v180, v35, vcc_lo
	v_fma_f64 v[14:15], v[38:39], s[4:5], v[20:21]
	v_fma_f64 v[34:35], v[139:140], s[4:5], v[44:45]
	;; [unrolled: 1-line block ×18, first 2 shown]
	v_add_co_u32 v60, vcc_lo, v179, v70
	s_wait_alu 0xfffd
	v_add_co_ci_u32_e32 v61, vcc_lo, v180, v71, vcc_lo
	v_add_co_u32 v62, vcc_lo, v179, v72
	s_wait_alu 0xfffd
	v_add_co_ci_u32_e32 v63, vcc_lo, v180, v73, vcc_lo
	;; [unrolled: 3-line block ×6, first 2 shown]
	s_clause 0xe
	global_store_b128 v[115:116], v[8:11], off
	global_store_b128 v[117:118], v[52:55], off
	;; [unrolled: 1-line block ×15, first 2 shown]
.LBB0_16:
	s_nop 0
	s_sendmsg sendmsg(MSG_DEALLOC_VGPRS)
	s_endpgm
	.section	.rodata,"a",@progbits
	.p2align	6, 0x0
	.amdhsa_kernel fft_rtc_fwd_len1275_factors_17_3_5_5_wgs_255_tpt_85_halfLds_dp_op_CI_CI_sbrr_dirReg
		.amdhsa_group_segment_fixed_size 0
		.amdhsa_private_segment_fixed_size 0
		.amdhsa_kernarg_size 104
		.amdhsa_user_sgpr_count 2
		.amdhsa_user_sgpr_dispatch_ptr 0
		.amdhsa_user_sgpr_queue_ptr 0
		.amdhsa_user_sgpr_kernarg_segment_ptr 1
		.amdhsa_user_sgpr_dispatch_id 0
		.amdhsa_user_sgpr_private_segment_size 0
		.amdhsa_wavefront_size32 1
		.amdhsa_uses_dynamic_stack 0
		.amdhsa_enable_private_segment 0
		.amdhsa_system_sgpr_workgroup_id_x 1
		.amdhsa_system_sgpr_workgroup_id_y 0
		.amdhsa_system_sgpr_workgroup_id_z 0
		.amdhsa_system_sgpr_workgroup_info 0
		.amdhsa_system_vgpr_workitem_id 0
		.amdhsa_next_free_vgpr 230
		.amdhsa_next_free_sgpr 62
		.amdhsa_reserve_vcc 1
		.amdhsa_float_round_mode_32 0
		.amdhsa_float_round_mode_16_64 0
		.amdhsa_float_denorm_mode_32 3
		.amdhsa_float_denorm_mode_16_64 3
		.amdhsa_fp16_overflow 0
		.amdhsa_workgroup_processor_mode 1
		.amdhsa_memory_ordered 1
		.amdhsa_forward_progress 0
		.amdhsa_round_robin_scheduling 0
		.amdhsa_exception_fp_ieee_invalid_op 0
		.amdhsa_exception_fp_denorm_src 0
		.amdhsa_exception_fp_ieee_div_zero 0
		.amdhsa_exception_fp_ieee_overflow 0
		.amdhsa_exception_fp_ieee_underflow 0
		.amdhsa_exception_fp_ieee_inexact 0
		.amdhsa_exception_int_div_zero 0
	.end_amdhsa_kernel
	.text
.Lfunc_end0:
	.size	fft_rtc_fwd_len1275_factors_17_3_5_5_wgs_255_tpt_85_halfLds_dp_op_CI_CI_sbrr_dirReg, .Lfunc_end0-fft_rtc_fwd_len1275_factors_17_3_5_5_wgs_255_tpt_85_halfLds_dp_op_CI_CI_sbrr_dirReg
                                        ; -- End function
	.section	.AMDGPU.csdata,"",@progbits
; Kernel info:
; codeLenInByte = 14924
; NumSgprs: 64
; NumVgprs: 230
; ScratchSize: 0
; MemoryBound: 1
; FloatMode: 240
; IeeeMode: 1
; LDSByteSize: 0 bytes/workgroup (compile time only)
; SGPRBlocks: 7
; VGPRBlocks: 28
; NumSGPRsForWavesPerEU: 64
; NumVGPRsForWavesPerEU: 230
; Occupancy: 6
; WaveLimiterHint : 1
; COMPUTE_PGM_RSRC2:SCRATCH_EN: 0
; COMPUTE_PGM_RSRC2:USER_SGPR: 2
; COMPUTE_PGM_RSRC2:TRAP_HANDLER: 0
; COMPUTE_PGM_RSRC2:TGID_X_EN: 1
; COMPUTE_PGM_RSRC2:TGID_Y_EN: 0
; COMPUTE_PGM_RSRC2:TGID_Z_EN: 0
; COMPUTE_PGM_RSRC2:TIDIG_COMP_CNT: 0
	.text
	.p2alignl 7, 3214868480
	.fill 96, 4, 3214868480
	.type	__hip_cuid_bcafb3a258c18a83,@object ; @__hip_cuid_bcafb3a258c18a83
	.section	.bss,"aw",@nobits
	.globl	__hip_cuid_bcafb3a258c18a83
__hip_cuid_bcafb3a258c18a83:
	.byte	0                               ; 0x0
	.size	__hip_cuid_bcafb3a258c18a83, 1

	.ident	"AMD clang version 19.0.0git (https://github.com/RadeonOpenCompute/llvm-project roc-6.4.0 25133 c7fe45cf4b819c5991fe208aaa96edf142730f1d)"
	.section	".note.GNU-stack","",@progbits
	.addrsig
	.addrsig_sym __hip_cuid_bcafb3a258c18a83
	.amdgpu_metadata
---
amdhsa.kernels:
  - .args:
      - .actual_access:  read_only
        .address_space:  global
        .offset:         0
        .size:           8
        .value_kind:     global_buffer
      - .offset:         8
        .size:           8
        .value_kind:     by_value
      - .actual_access:  read_only
        .address_space:  global
        .offset:         16
        .size:           8
        .value_kind:     global_buffer
      - .actual_access:  read_only
        .address_space:  global
        .offset:         24
        .size:           8
        .value_kind:     global_buffer
      - .actual_access:  read_only
        .address_space:  global
        .offset:         32
        .size:           8
        .value_kind:     global_buffer
      - .offset:         40
        .size:           8
        .value_kind:     by_value
      - .actual_access:  read_only
        .address_space:  global
        .offset:         48
        .size:           8
        .value_kind:     global_buffer
      - .actual_access:  read_only
        .address_space:  global
        .offset:         56
        .size:           8
        .value_kind:     global_buffer
      - .offset:         64
        .size:           4
        .value_kind:     by_value
      - .actual_access:  read_only
        .address_space:  global
        .offset:         72
        .size:           8
        .value_kind:     global_buffer
      - .actual_access:  read_only
        .address_space:  global
        .offset:         80
        .size:           8
        .value_kind:     global_buffer
      - .actual_access:  read_only
        .address_space:  global
        .offset:         88
        .size:           8
        .value_kind:     global_buffer
      - .actual_access:  write_only
        .address_space:  global
        .offset:         96
        .size:           8
        .value_kind:     global_buffer
    .group_segment_fixed_size: 0
    .kernarg_segment_align: 8
    .kernarg_segment_size: 104
    .language:       OpenCL C
    .language_version:
      - 2
      - 0
    .max_flat_workgroup_size: 255
    .name:           fft_rtc_fwd_len1275_factors_17_3_5_5_wgs_255_tpt_85_halfLds_dp_op_CI_CI_sbrr_dirReg
    .private_segment_fixed_size: 0
    .sgpr_count:     64
    .sgpr_spill_count: 0
    .symbol:         fft_rtc_fwd_len1275_factors_17_3_5_5_wgs_255_tpt_85_halfLds_dp_op_CI_CI_sbrr_dirReg.kd
    .uniform_work_group_size: 1
    .uses_dynamic_stack: false
    .vgpr_count:     230
    .vgpr_spill_count: 0
    .wavefront_size: 32
    .workgroup_processor_mode: 1
amdhsa.target:   amdgcn-amd-amdhsa--gfx1201
amdhsa.version:
  - 1
  - 2
...

	.end_amdgpu_metadata
